;; amdgpu-corpus repo=ROCm/rocFFT kind=compiled arch=gfx1030 opt=O3
	.text
	.amdgcn_target "amdgcn-amd-amdhsa--gfx1030"
	.amdhsa_code_object_version 6
	.protected	fft_rtc_back_len1512_factors_2_2_2_3_3_3_7_wgs_63_tpt_63_halfLds_dp_ip_CI_sbrr_dirReg ; -- Begin function fft_rtc_back_len1512_factors_2_2_2_3_3_3_7_wgs_63_tpt_63_halfLds_dp_ip_CI_sbrr_dirReg
	.globl	fft_rtc_back_len1512_factors_2_2_2_3_3_3_7_wgs_63_tpt_63_halfLds_dp_ip_CI_sbrr_dirReg
	.p2align	8
	.type	fft_rtc_back_len1512_factors_2_2_2_3_3_3_7_wgs_63_tpt_63_halfLds_dp_ip_CI_sbrr_dirReg,@function
fft_rtc_back_len1512_factors_2_2_2_3_3_3_7_wgs_63_tpt_63_halfLds_dp_ip_CI_sbrr_dirReg: ; @fft_rtc_back_len1512_factors_2_2_2_3_3_3_7_wgs_63_tpt_63_halfLds_dp_ip_CI_sbrr_dirReg
; %bb.0:
	s_clause 0x2
	s_load_dwordx2 s[14:15], s[4:5], 0x18
	s_load_dwordx4 s[8:11], s[4:5], 0x0
	s_load_dwordx2 s[12:13], s[4:5], 0x50
	v_mul_u32_u24_e32 v1, 0x411, v0
	v_mov_b32_e32 v3, 0
	v_add_nc_u32_sdwa v5, s6, v1 dst_sel:DWORD dst_unused:UNUSED_PAD src0_sel:DWORD src1_sel:WORD_1
	v_mov_b32_e32 v1, 0
	v_mov_b32_e32 v6, v3
	v_mov_b32_e32 v2, 0
	s_waitcnt lgkmcnt(0)
	s_load_dwordx2 s[2:3], s[14:15], 0x0
	v_cmp_lt_u64_e64 s0, s[10:11], 2
	s_and_b32 vcc_lo, exec_lo, s0
	s_cbranch_vccnz .LBB0_8
; %bb.1:
	s_load_dwordx2 s[0:1], s[4:5], 0x10
	v_mov_b32_e32 v1, 0
	s_add_u32 s6, s14, 8
	v_mov_b32_e32 v2, 0
	s_addc_u32 s7, s15, 0
	s_mov_b64 s[18:19], 1
	s_waitcnt lgkmcnt(0)
	s_add_u32 s16, s0, 8
	s_addc_u32 s17, s1, 0
.LBB0_2:                                ; =>This Inner Loop Header: Depth=1
	s_load_dwordx2 s[20:21], s[16:17], 0x0
                                        ; implicit-def: $vgpr7_vgpr8
	s_mov_b32 s0, exec_lo
	s_waitcnt lgkmcnt(0)
	v_or_b32_e32 v4, s21, v6
	v_cmpx_ne_u64_e32 0, v[3:4]
	s_xor_b32 s1, exec_lo, s0
	s_cbranch_execz .LBB0_4
; %bb.3:                                ;   in Loop: Header=BB0_2 Depth=1
	v_cvt_f32_u32_e32 v4, s20
	v_cvt_f32_u32_e32 v7, s21
	s_sub_u32 s0, 0, s20
	s_subb_u32 s22, 0, s21
	v_fmac_f32_e32 v4, 0x4f800000, v7
	v_rcp_f32_e32 v4, v4
	v_mul_f32_e32 v4, 0x5f7ffffc, v4
	v_mul_f32_e32 v7, 0x2f800000, v4
	v_trunc_f32_e32 v7, v7
	v_fmac_f32_e32 v4, 0xcf800000, v7
	v_cvt_u32_f32_e32 v7, v7
	v_cvt_u32_f32_e32 v4, v4
	v_mul_lo_u32 v8, s0, v7
	v_mul_hi_u32 v9, s0, v4
	v_mul_lo_u32 v10, s22, v4
	v_add_nc_u32_e32 v8, v9, v8
	v_mul_lo_u32 v9, s0, v4
	v_add_nc_u32_e32 v8, v8, v10
	v_mul_hi_u32 v10, v4, v9
	v_mul_lo_u32 v11, v4, v8
	v_mul_hi_u32 v12, v4, v8
	v_mul_hi_u32 v13, v7, v9
	v_mul_lo_u32 v9, v7, v9
	v_mul_hi_u32 v14, v7, v8
	v_mul_lo_u32 v8, v7, v8
	v_add_co_u32 v10, vcc_lo, v10, v11
	v_add_co_ci_u32_e32 v11, vcc_lo, 0, v12, vcc_lo
	v_add_co_u32 v9, vcc_lo, v10, v9
	v_add_co_ci_u32_e32 v9, vcc_lo, v11, v13, vcc_lo
	v_add_co_ci_u32_e32 v10, vcc_lo, 0, v14, vcc_lo
	v_add_co_u32 v8, vcc_lo, v9, v8
	v_add_co_ci_u32_e32 v9, vcc_lo, 0, v10, vcc_lo
	v_add_co_u32 v4, vcc_lo, v4, v8
	v_add_co_ci_u32_e32 v7, vcc_lo, v7, v9, vcc_lo
	v_mul_hi_u32 v8, s0, v4
	v_mul_lo_u32 v10, s22, v4
	v_mul_lo_u32 v9, s0, v7
	v_add_nc_u32_e32 v8, v8, v9
	v_mul_lo_u32 v9, s0, v4
	v_add_nc_u32_e32 v8, v8, v10
	v_mul_hi_u32 v10, v4, v9
	v_mul_lo_u32 v11, v4, v8
	v_mul_hi_u32 v12, v4, v8
	v_mul_hi_u32 v13, v7, v9
	v_mul_lo_u32 v9, v7, v9
	v_mul_hi_u32 v14, v7, v8
	v_mul_lo_u32 v8, v7, v8
	v_add_co_u32 v10, vcc_lo, v10, v11
	v_add_co_ci_u32_e32 v11, vcc_lo, 0, v12, vcc_lo
	v_add_co_u32 v9, vcc_lo, v10, v9
	v_add_co_ci_u32_e32 v9, vcc_lo, v11, v13, vcc_lo
	v_add_co_ci_u32_e32 v10, vcc_lo, 0, v14, vcc_lo
	v_add_co_u32 v8, vcc_lo, v9, v8
	v_add_co_ci_u32_e32 v9, vcc_lo, 0, v10, vcc_lo
	v_add_co_u32 v4, vcc_lo, v4, v8
	v_add_co_ci_u32_e32 v11, vcc_lo, v7, v9, vcc_lo
	v_mul_hi_u32 v13, v5, v4
	v_mad_u64_u32 v[9:10], null, v6, v4, 0
	v_mad_u64_u32 v[7:8], null, v5, v11, 0
	;; [unrolled: 1-line block ×3, first 2 shown]
	v_add_co_u32 v4, vcc_lo, v13, v7
	v_add_co_ci_u32_e32 v7, vcc_lo, 0, v8, vcc_lo
	v_add_co_u32 v4, vcc_lo, v4, v9
	v_add_co_ci_u32_e32 v4, vcc_lo, v7, v10, vcc_lo
	v_add_co_ci_u32_e32 v7, vcc_lo, 0, v12, vcc_lo
	v_add_co_u32 v4, vcc_lo, v4, v11
	v_add_co_ci_u32_e32 v9, vcc_lo, 0, v7, vcc_lo
	v_mul_lo_u32 v10, s21, v4
	v_mad_u64_u32 v[7:8], null, s20, v4, 0
	v_mul_lo_u32 v11, s20, v9
	v_sub_co_u32 v7, vcc_lo, v5, v7
	v_add3_u32 v8, v8, v11, v10
	v_sub_nc_u32_e32 v10, v6, v8
	v_subrev_co_ci_u32_e64 v10, s0, s21, v10, vcc_lo
	v_add_co_u32 v11, s0, v4, 2
	v_add_co_ci_u32_e64 v12, s0, 0, v9, s0
	v_sub_co_u32 v13, s0, v7, s20
	v_sub_co_ci_u32_e32 v8, vcc_lo, v6, v8, vcc_lo
	v_subrev_co_ci_u32_e64 v10, s0, 0, v10, s0
	v_cmp_le_u32_e32 vcc_lo, s20, v13
	v_cmp_eq_u32_e64 s0, s21, v8
	v_cndmask_b32_e64 v13, 0, -1, vcc_lo
	v_cmp_le_u32_e32 vcc_lo, s21, v10
	v_cndmask_b32_e64 v14, 0, -1, vcc_lo
	v_cmp_le_u32_e32 vcc_lo, s20, v7
	;; [unrolled: 2-line block ×3, first 2 shown]
	v_cndmask_b32_e64 v15, 0, -1, vcc_lo
	v_cmp_eq_u32_e32 vcc_lo, s21, v10
	v_cndmask_b32_e64 v7, v15, v7, s0
	v_cndmask_b32_e32 v10, v14, v13, vcc_lo
	v_add_co_u32 v13, vcc_lo, v4, 1
	v_add_co_ci_u32_e32 v14, vcc_lo, 0, v9, vcc_lo
	v_cmp_ne_u32_e32 vcc_lo, 0, v10
	v_cndmask_b32_e32 v8, v14, v12, vcc_lo
	v_cndmask_b32_e32 v10, v13, v11, vcc_lo
	v_cmp_ne_u32_e32 vcc_lo, 0, v7
	v_cndmask_b32_e32 v8, v9, v8, vcc_lo
	v_cndmask_b32_e32 v7, v4, v10, vcc_lo
.LBB0_4:                                ;   in Loop: Header=BB0_2 Depth=1
	s_andn2_saveexec_b32 s0, s1
	s_cbranch_execz .LBB0_6
; %bb.5:                                ;   in Loop: Header=BB0_2 Depth=1
	v_cvt_f32_u32_e32 v4, s20
	s_sub_i32 s1, 0, s20
	v_rcp_iflag_f32_e32 v4, v4
	v_mul_f32_e32 v4, 0x4f7ffffe, v4
	v_cvt_u32_f32_e32 v4, v4
	v_mul_lo_u32 v7, s1, v4
	v_mul_hi_u32 v7, v4, v7
	v_add_nc_u32_e32 v4, v4, v7
	v_mul_hi_u32 v4, v5, v4
	v_mul_lo_u32 v7, v4, s20
	v_add_nc_u32_e32 v8, 1, v4
	v_sub_nc_u32_e32 v7, v5, v7
	v_subrev_nc_u32_e32 v9, s20, v7
	v_cmp_le_u32_e32 vcc_lo, s20, v7
	v_cndmask_b32_e32 v7, v7, v9, vcc_lo
	v_cndmask_b32_e32 v4, v4, v8, vcc_lo
	v_cmp_le_u32_e32 vcc_lo, s20, v7
	v_add_nc_u32_e32 v8, 1, v4
	v_cndmask_b32_e32 v7, v4, v8, vcc_lo
	v_mov_b32_e32 v8, v3
.LBB0_6:                                ;   in Loop: Header=BB0_2 Depth=1
	s_or_b32 exec_lo, exec_lo, s0
	s_load_dwordx2 s[0:1], s[6:7], 0x0
	v_mul_lo_u32 v4, v8, s20
	v_mul_lo_u32 v11, v7, s21
	v_mad_u64_u32 v[9:10], null, v7, s20, 0
	s_add_u32 s18, s18, 1
	s_addc_u32 s19, s19, 0
	s_add_u32 s6, s6, 8
	s_addc_u32 s7, s7, 0
	;; [unrolled: 2-line block ×3, first 2 shown]
	v_add3_u32 v4, v10, v11, v4
	v_sub_co_u32 v5, vcc_lo, v5, v9
	v_sub_co_ci_u32_e32 v4, vcc_lo, v6, v4, vcc_lo
	s_waitcnt lgkmcnt(0)
	v_mul_lo_u32 v6, s1, v5
	v_mul_lo_u32 v4, s0, v4
	v_mad_u64_u32 v[1:2], null, s0, v5, v[1:2]
	v_cmp_ge_u64_e64 s0, s[18:19], s[10:11]
	s_and_b32 vcc_lo, exec_lo, s0
	v_add3_u32 v2, v6, v2, v4
	s_cbranch_vccnz .LBB0_9
; %bb.7:                                ;   in Loop: Header=BB0_2 Depth=1
	v_mov_b32_e32 v5, v7
	v_mov_b32_e32 v6, v8
	s_branch .LBB0_2
.LBB0_8:
	v_mov_b32_e32 v8, v6
	v_mov_b32_e32 v7, v5
.LBB0_9:
	s_lshl_b64 s[0:1], s[10:11], 3
	v_mul_hi_u32 v3, 0x4104105, v0
	s_add_u32 s0, s14, s0
	s_addc_u32 s1, s15, s1
	s_load_dwordx2 s[4:5], s[4:5], 0x20
	s_load_dwordx2 s[0:1], s[0:1], 0x0
                                        ; implicit-def: $vgpr132
                                        ; implicit-def: $vgpr128
                                        ; implicit-def: $vgpr193
	v_mul_u32_u24_e32 v3, 63, v3
	v_sub_nc_u32_e32 v192, v0, v3
	v_add_nc_u32_e32 v195, 63, v192
	v_add_nc_u32_e32 v194, 0x7e, v192
	v_add_nc_u32_e32 v115, 0xfc, v192
	v_add_nc_u32_e32 v116, 0x13b, v192
	v_add_nc_u32_e32 v114, 0x17a, v192
	s_waitcnt lgkmcnt(0)
	v_cmp_gt_u64_e32 vcc_lo, s[4:5], v[7:8]
	v_mul_lo_u32 v3, s0, v8
	v_mul_lo_u32 v4, s1, v7
	v_mad_u64_u32 v[0:1], null, s0, v7, v[1:2]
	v_cmp_le_u64_e64 s0, s[4:5], v[7:8]
	v_add_nc_u32_e32 v117, 0x1b9, v192
	v_add_nc_u32_e32 v99, 0x1f8, v192
	;; [unrolled: 1-line block ×5, first 2 shown]
	v_add3_u32 v1, v4, v1, v3
	s_and_saveexec_b32 s1, s0
	s_xor_b32 s0, exec_lo, s1
; %bb.10:
	v_add_nc_u32_e32 v132, 63, v192
	v_add_nc_u32_e32 v128, 0x7e, v192
	;; [unrolled: 1-line block ×11, first 2 shown]
; %bb.11:
	s_or_saveexec_b32 s1, s0
	v_lshlrev_b64 v[168:169], 4, v[0:1]
                                        ; implicit-def: $vgpr46_vgpr47
                                        ; implicit-def: $vgpr2_vgpr3
                                        ; implicit-def: $vgpr50_vgpr51
                                        ; implicit-def: $vgpr6_vgpr7
                                        ; implicit-def: $vgpr54_vgpr55
                                        ; implicit-def: $vgpr10_vgpr11
                                        ; implicit-def: $vgpr58_vgpr59
                                        ; implicit-def: $vgpr14_vgpr15
                                        ; implicit-def: $vgpr62_vgpr63
                                        ; implicit-def: $vgpr18_vgpr19
                                        ; implicit-def: $vgpr66_vgpr67
                                        ; implicit-def: $vgpr22_vgpr23
                                        ; implicit-def: $vgpr70_vgpr71
                                        ; implicit-def: $vgpr26_vgpr27
                                        ; implicit-def: $vgpr74_vgpr75
                                        ; implicit-def: $vgpr30_vgpr31
                                        ; implicit-def: $vgpr78_vgpr79
                                        ; implicit-def: $vgpr34_vgpr35
                                        ; implicit-def: $vgpr82_vgpr83
                                        ; implicit-def: $vgpr38_vgpr39
                                        ; implicit-def: $vgpr86_vgpr87
                                        ; implicit-def: $vgpr42_vgpr43
                                        ; implicit-def: $vgpr94_vgpr95
                                        ; implicit-def: $vgpr90_vgpr91
	s_xor_b32 exec_lo, exec_lo, s1
	s_cbranch_execz .LBB0_13
; %bb.12:
	v_add_nc_u32_e32 v8, 0x2f4, v192
	v_mad_u64_u32 v[0:1], null, s2, v192, 0
	v_mad_u64_u32 v[4:5], null, s2, v195, 0
	;; [unrolled: 1-line block ×3, first 2 shown]
	v_add_nc_u32_e32 v14, 0x333, v192
	v_mad_u64_u32 v[12:13], null, s2, v194, 0
	v_add_nc_u32_e32 v18, 0x372, v192
	v_add_co_u32 v10, s0, s12, v168
	v_mad_u64_u32 v[6:7], null, s3, v192, v[1:2]
	v_mov_b32_e32 v1, v3
	v_mov_b32_e32 v3, v5
	v_add_co_ci_u32_e64 v11, s0, s13, v169, s0
	v_add_nc_u32_e32 v193, 0xbd, v192
	v_mad_u64_u32 v[7:8], null, s3, v8, v[1:2]
	v_mad_u64_u32 v[8:9], null, s2, v14, 0
	v_mov_b32_e32 v1, v6
	v_mad_u64_u32 v[5:6], null, s3, v195, v[3:4]
	v_mad_u64_u32 v[16:17], null, s2, v193, 0
	v_mov_b32_e32 v3, v7
	v_mov_b32_e32 v6, v9
	v_lshlrev_b64 v[0:1], 4, v[0:1]
	v_add_nc_u32_e32 v23, 0x3b1, v192
	v_lshlrev_b64 v[4:5], 4, v[4:5]
	v_lshlrev_b64 v[2:3], 4, v[2:3]
	v_mad_u64_u32 v[6:7], null, s3, v14, v[6:7]
	v_mov_b32_e32 v7, v13
	v_mad_u64_u32 v[14:15], null, s2, v18, 0
	v_add_co_u32 v0, s0, v10, v0
	v_add_co_ci_u32_e64 v1, s0, v11, v1, s0
	v_mov_b32_e32 v9, v6
	v_mad_u64_u32 v[6:7], null, s3, v194, v[7:8]
	v_add_co_u32 v2, s0, v10, v2
	v_lshlrev_b64 v[7:8], 4, v[8:9]
	v_add_co_ci_u32_e64 v3, s0, v11, v3, s0
	v_add_co_u32 v4, s0, v10, v4
	v_mov_b32_e32 v9, v15
	v_add_co_ci_u32_e64 v5, s0, v11, v5, s0
	v_mov_b32_e32 v13, v6
	v_add_co_u32 v6, s0, v10, v7
	v_mad_u64_u32 v[18:19], null, s3, v18, v[9:10]
	v_add_co_ci_u32_e64 v7, s0, v11, v8, s0
	v_mov_b32_e32 v8, v17
	v_lshlrev_b64 v[12:13], 4, v[12:13]
	v_mad_u64_u32 v[19:20], null, s2, v23, 0
	v_mov_b32_e32 v15, v18
	v_mad_u64_u32 v[21:22], null, s3, v193, v[8:9]
	v_add_co_u32 v8, s0, v10, v12
	v_add_co_ci_u32_e64 v9, s0, v11, v13, s0
	v_lshlrev_b64 v[12:13], 4, v[14:15]
	v_mov_b32_e32 v14, v20
	v_mov_b32_e32 v17, v21
	v_mad_u64_u32 v[21:22], null, s2, v115, 0
	v_add_nc_u32_e32 v27, 0x3f0, v192
	v_mad_u64_u32 v[14:15], null, s3, v23, v[14:15]
	v_lshlrev_b64 v[15:16], 4, v[16:17]
	v_add_co_u32 v12, s0, v10, v12
	v_mov_b32_e32 v17, v22
	v_mad_u64_u32 v[23:24], null, s2, v27, 0
	v_add_co_ci_u32_e64 v13, s0, v11, v13, s0
	v_mov_b32_e32 v20, v14
	v_mad_u64_u32 v[17:18], null, s3, v115, v[17:18]
	v_add_co_u32 v14, s0, v10, v15
	v_mad_u64_u32 v[25:26], null, s2, v116, 0
	v_add_co_ci_u32_e64 v15, s0, v11, v16, s0
	v_mov_b32_e32 v16, v24
	v_lshlrev_b64 v[18:19], 4, v[19:20]
	v_add_nc_u32_e32 v31, 0x42f, v192
	v_mov_b32_e32 v22, v17
	v_mad_u64_u32 v[29:30], null, s2, v114, 0
	v_mad_u64_u32 v[16:17], null, s3, v27, v[16:17]
	v_mov_b32_e32 v17, v26
	v_mad_u64_u32 v[27:28], null, s2, v31, 0
	v_add_co_u32 v18, s0, v10, v18
	v_lshlrev_b64 v[20:21], 4, v[21:22]
	v_mov_b32_e32 v24, v16
	v_add_co_ci_u32_e64 v19, s0, v11, v19, s0
	v_mad_u64_u32 v[16:17], null, s3, v116, v[17:18]
	v_mov_b32_e32 v17, v28
	v_lshlrev_b64 v[22:23], 4, v[23:24]
	v_add_co_u32 v20, s0, v10, v20
	v_add_co_ci_u32_e64 v21, s0, v11, v21, s0
	v_mov_b32_e32 v26, v16
	v_mad_u64_u32 v[16:17], null, s3, v31, v[17:18]
	v_mov_b32_e32 v17, v30
	v_add_nc_u32_e32 v30, 0x46e, v192
	v_lshlrev_b64 v[24:25], 4, v[25:26]
	v_add_co_u32 v22, s0, v10, v22
	v_add_co_ci_u32_e64 v23, s0, v11, v23, s0
	v_mad_u64_u32 v[31:32], null, s2, v30, 0
	v_mov_b32_e32 v28, v16
	v_add_co_u32 v16, s0, v10, v24
	v_mad_u64_u32 v[33:34], null, s3, v114, v[17:18]
	v_add_co_ci_u32_e64 v17, s0, v11, v25, s0
	v_lshlrev_b64 v[24:25], 4, v[27:28]
	v_mad_u64_u32 v[27:28], null, s2, v117, 0
	v_mov_b32_e32 v26, v32
	v_add_nc_u32_e32 v37, 0x4ad, v192
	v_add_nc_u32_e32 v38, 0x52b, v192
	v_add_co_u32 v44, s0, v10, v24
	v_add_co_ci_u32_e64 v45, s0, v11, v25, s0
	v_mad_u64_u32 v[34:35], null, s3, v30, v[26:27]
	v_mad_u64_u32 v[35:36], null, s2, v37, 0
	v_mov_b32_e32 v30, v33
	v_mov_b32_e32 v24, v28
	v_add_nc_u32_e32 v39, 0x5a9, v192
	v_mov_b32_e32 v128, v194
	v_mov_b32_e32 v32, v34
	v_lshlrev_b64 v[28:29], 4, v[29:30]
	v_mov_b32_e32 v25, v36
	v_mov_b32_e32 v132, v195
	v_mad_u64_u32 v[33:34], null, s3, v117, v[24:25]
	v_mad_u64_u32 v[24:25], null, s3, v37, v[25:26]
	v_add_nc_u32_e32 v37, 0x4ec, v192
	v_add_co_u32 v46, s0, v10, v28
	v_lshlrev_b64 v[25:26], 4, v[31:32]
	v_add_co_ci_u32_e64 v47, s0, v11, v29, s0
	v_mad_u64_u32 v[29:30], null, s2, v99, 0
	v_mad_u64_u32 v[31:32], null, s2, v37, 0
	v_mov_b32_e32 v28, v33
	v_mov_b32_e32 v36, v24
	v_add_co_u32 v48, s0, v10, v25
	v_add_co_ci_u32_e64 v49, s0, v11, v26, s0
	v_lshlrev_b64 v[24:25], 4, v[27:28]
	v_lshlrev_b64 v[27:28], 4, v[35:36]
	v_mov_b32_e32 v26, v30
	v_mov_b32_e32 v30, v32
	v_add_co_u32 v50, s0, v10, v24
	v_mad_u64_u32 v[32:33], null, s3, v99, v[26:27]
	v_mad_u64_u32 v[35:36], null, s3, v37, v[30:31]
	;; [unrolled: 1-line block ×4, first 2 shown]
	v_add_co_ci_u32_e64 v51, s0, v11, v25, s0
	v_mov_b32_e32 v30, v32
	v_mov_b32_e32 v32, v35
	v_mov_b32_e32 v24, v34
	v_add_co_u32 v52, s0, v10, v27
	v_mov_b32_e32 v25, v37
	v_add_co_ci_u32_e64 v53, s0, v11, v28, s0
	v_lshlrev_b64 v[27:28], 4, v[31:32]
	v_mad_u64_u32 v[34:35], null, s3, v98, v[24:25]
	v_add_nc_u32_e32 v35, 0x56a, v192
	v_mad_u64_u32 v[24:25], null, s3, v38, v[25:26]
	v_lshlrev_b64 v[25:26], 4, v[29:30]
	v_mad_u64_u32 v[29:30], null, s2, v97, 0
	v_mad_u64_u32 v[31:32], null, s2, v35, 0
	v_add_co_u32 v54, s0, v10, v25
	v_add_co_ci_u32_e64 v55, s0, v11, v26, s0
	v_lshlrev_b64 v[25:26], 4, v[33:34]
	v_mov_b32_e32 v37, v24
	v_mov_b32_e32 v24, v30
	;; [unrolled: 1-line block ×3, first 2 shown]
	v_add_co_u32 v56, s0, v10, v27
	v_add_co_ci_u32_e64 v57, s0, v11, v28, s0
	v_mad_u64_u32 v[32:33], null, s3, v97, v[24:25]
	v_mad_u64_u32 v[33:34], null, s3, v35, v[30:31]
	v_lshlrev_b64 v[27:28], 4, v[36:37]
	v_mad_u64_u32 v[34:35], null, s2, v96, 0
	v_mad_u64_u32 v[36:37], null, s2, v39, 0
	v_add_co_u32 v100, s0, v10, v25
	v_mov_b32_e32 v30, v32
	v_mov_b32_e32 v32, v33
	;; [unrolled: 1-line block ×3, first 2 shown]
	v_add_co_ci_u32_e64 v101, s0, v11, v26, s0
	v_mov_b32_e32 v25, v37
	v_lshlrev_b64 v[29:30], 4, v[29:30]
	v_add_co_u32 v102, s0, v10, v27
	v_add_co_ci_u32_e64 v103, s0, v11, v28, s0
	v_mad_u64_u32 v[37:38], null, s3, v96, v[24:25]
	v_mad_u64_u32 v[24:25], null, s3, v39, v[25:26]
	v_lshlrev_b64 v[25:26], 4, v[31:32]
	v_add_co_u32 v104, s0, v10, v29
	v_add_co_ci_u32_e64 v105, s0, v11, v30, s0
	v_mov_b32_e32 v35, v37
	v_mov_b32_e32 v37, v24
	v_add_co_u32 v106, s0, v10, v25
	v_add_co_ci_u32_e64 v107, s0, v11, v26, s0
	v_lshlrev_b64 v[27:28], 4, v[34:35]
	v_lshlrev_b64 v[24:25], 4, v[36:37]
	v_add_co_u32 v108, s0, v10, v27
	v_add_co_ci_u32_e64 v109, s0, v11, v28, s0
	v_add_co_u32 v110, s0, v10, v24
	v_add_co_ci_u32_e64 v111, s0, v11, v25, s0
	s_clause 0x17
	global_load_dwordx4 v[88:91], v[0:1], off
	global_load_dwordx4 v[92:95], v[2:3], off
	;; [unrolled: 1-line block ×24, first 2 shown]
.LBB0_13:
	s_or_b32 exec_lo, exec_lo, s1
	s_waitcnt vmcnt(22)
	v_add_f64 v[102:103], v[88:89], -v[92:93]
	s_waitcnt vmcnt(20)
	v_add_f64 v[106:107], v[40:41], -v[84:85]
	;; [unrolled: 2-line block ×12, first 2 shown]
	v_add_f64 v[92:93], v[90:91], -v[94:95]
	v_lshl_add_u32 v94, v192, 4, 0
	v_lshl_add_u32 v95, v132, 4, 0
	;; [unrolled: 1-line block ×9, first 2 shown]
	v_fma_f64 v[100:101], v[88:89], 2.0, -v[102:103]
	v_fma_f64 v[104:105], v[40:41], 2.0, -v[106:107]
	;; [unrolled: 1-line block ×12, first 2 shown]
	v_lshl_add_u32 v24, v115, 4, 0
	v_lshl_add_u32 v25, v116, 4, 0
	;; [unrolled: 1-line block ×3, first 2 shown]
	v_add_f64 v[44:45], v[42:43], -v[86:87]
	v_add_f64 v[40:41], v[38:39], -v[82:83]
	;; [unrolled: 1-line block ×7, first 2 shown]
	ds_write_b128 v94, v[100:103]
	ds_write_b128 v95, v[104:107]
	;; [unrolled: 1-line block ×12, first 2 shown]
	v_add_f64 v[104:105], v[10:11], -v[54:55]
	v_add_f64 v[108:109], v[6:7], -v[50:51]
	;; [unrolled: 1-line block ×4, first 2 shown]
	v_fma_f64 v[90:91], v[90:91], 2.0, -v[92:93]
	v_lshlrev_b32_e32 v1, 3, v116
	v_lshlrev_b32_e32 v4, 3, v114
	;; [unrolled: 1-line block ×3, first 2 shown]
	v_lshl_add_u32 v129, v192, 3, 0
	v_lshlrev_b32_e32 v5, 3, v97
	v_sub_nc_u32_e32 v121, v25, v1
	v_lshlrev_b32_e32 v1, 3, v99
	v_sub_nc_u32_e32 v140, v89, v4
	v_lshlrev_b32_e32 v4, 3, v98
	v_fma_f64 v[42:43], v[42:43], 2.0, -v[44:45]
	v_fma_f64 v[38:39], v[38:39], 2.0, -v[40:41]
	;; [unrolled: 1-line block ×7, first 2 shown]
	v_lshlrev_b32_e32 v8, 3, v96
	v_fma_f64 v[102:103], v[10:11], 2.0, -v[104:105]
	v_fma_f64 v[106:107], v[6:7], 2.0, -v[108:109]
	v_fma_f64 v[81:82], v[18:19], 2.0, -v[83:84]
	v_fma_f64 v[85:86], v[14:15], 2.0, -v[87:88]
	v_lshlrev_b32_e32 v139, 3, v193
	v_sub_nc_u32_e32 v120, v24, v0
	v_lshlrev_b32_e32 v0, 3, v117
	v_sub_nc_u32_e32 v119, v163, v1
	v_add_nc_u32_e32 v134, 0x1800, v129
	v_sub_nc_u32_e32 v76, v164, v4
	v_lshl_add_u32 v130, v132, 3, 0
	v_add_nc_u32_e32 v135, 0x1c00, v129
	v_sub_nc_u32_e32 v77, v165, v5
	v_lshl_add_u32 v131, v128, 3, 0
	v_add_nc_u32_e32 v136, 0x2000, v129
	v_sub_nc_u32_e32 v80, v166, v8
	v_sub_nc_u32_e32 v122, v138, v139
	v_add_nc_u32_e32 v78, 0x2400, v129
	v_add_nc_u32_e32 v133, 0x1400, v129
	;; [unrolled: 1-line block ×3, first 2 shown]
	s_waitcnt lgkmcnt(0)
	s_barrier
	buffer_gl0_inv
	v_sub_nc_u32_e32 v118, v127, v0
	ds_read_b64 v[52:53], v129
	ds_read_b64 v[54:55], v130
	;; [unrolled: 1-line block ×12, first 2 shown]
	ds_read2_b64 v[16:19], v133 offset0:116 offset1:179
	ds_read2_b64 v[20:23], v134 offset0:114 offset1:177
	ds_read2_b64 v[12:15], v135 offset0:112 offset1:175
	ds_read2_b64 v[8:11], v136 offset0:110 offset1:173
	ds_read2_b64 v[4:7], v78 offset0:108 offset1:171
	ds_read2_b64 v[0:3], v137 offset0:106 offset1:169
	s_waitcnt lgkmcnt(0)
	s_barrier
	buffer_gl0_inv
	ds_write_b128 v94, v[90:93]
	ds_write_b128 v95, v[42:45]
	;; [unrolled: 1-line block ×9, first 2 shown]
	v_and_b32_e32 v95, 1, v192
	v_and_b32_e32 v101, 1, v132
	ds_write_b128 v164, v[102:105]
	ds_write_b128 v165, v[106:109]
	;; [unrolled: 1-line block ×3, first 2 shown]
	v_and_b32_e32 v103, 1, v193
	v_and_b32_e32 v105, 1, v116
	;; [unrolled: 1-line block ×5, first 2 shown]
	v_lshlrev_b32_e32 v24, 4, v95
	v_lshlrev_b32_e32 v28, 4, v101
	;; [unrolled: 1-line block ×7, first 2 shown]
	s_waitcnt lgkmcnt(0)
	s_barrier
	buffer_gl0_inv
	s_clause 0x6
	global_load_dwordx4 v[24:27], v24, s[8:9]
	global_load_dwordx4 v[28:31], v28, s[8:9]
	;; [unrolled: 1-line block ×7, first 2 shown]
	v_lshlrev_b32_e32 v92, 1, v192
	v_lshlrev_b32_e32 v81, 1, v128
	;; [unrolled: 1-line block ×8, first 2 shown]
	v_and_or_b32 v109, 0x7c, v92, v95
	v_and_or_b32 v110, 0x1fc, v81, v95
	;; [unrolled: 1-line block ×8, first 2 shown]
	v_lshl_add_u32 v222, v109, 3, 0
	v_lshl_add_u32 v223, v110, 3, 0
	;; [unrolled: 1-line block ×8, first 2 shown]
	ds_read2_b64 v[105:108], v133 offset0:116 offset1:179
	ds_read2_b64 v[109:112], v134 offset0:114 offset1:177
	;; [unrolled: 1-line block ×6, first 2 shown]
	ds_read_b64 v[153:154], v129
	ds_read_b64 v[155:156], v130
	;; [unrolled: 1-line block ×12, first 2 shown]
	v_lshlrev_b32_e32 v79, 1, v132
	v_lshlrev_b32_e32 v82, 1, v193
	;; [unrolled: 1-line block ×4, first 2 shown]
	v_and_b32_e32 v91, 3, v128
	v_and_b32_e32 v93, 3, v193
	;; [unrolled: 1-line block ×3, first 2 shown]
	v_and_or_b32 v101, 0xfc, v79, v101
	v_and_b32_e32 v102, 3, v192
	v_and_or_b32 v103, 0x1fc, v82, v103
	v_and_b32_e32 v94, 3, v114
	v_and_or_b32 v113, 0x7fc, v86, v95
	v_and_or_b32 v95, 0x5fc, v89, v95
	v_lshlrev_b32_e32 v127, 4, v91
	v_lshlrev_b32_e32 v167, 4, v93
	;; [unrolled: 1-line block ×3, first 2 shown]
	v_lshl_add_u32 v101, v101, 3, 0
	v_lshlrev_b32_e32 v221, 4, v102
	v_lshl_add_u32 v103, v103, 3, 0
	v_and_b32_e32 v104, 3, v116
	v_lshlrev_b32_e32 v218, 4, v94
	v_and_b32_e32 v99, 3, v117
	v_lshl_add_u32 v113, v113, 3, 0
	v_lshl_add_u32 v95, v95, 3, 0
	s_waitcnt vmcnt(0) lgkmcnt(0)
	s_barrier
	buffer_gl0_inv
	v_and_b32_e32 v98, 3, v98
	v_and_b32_e32 v97, 3, v97
	;; [unrolled: 1-line block ×3, first 2 shown]
	v_lshlrev_b32_e32 v219, 4, v99
	s_mov_b32 s4, 0xe8584caa
	s_mov_b32 s5, 0xbfebb67a
	;; [unrolled: 1-line block ×4, first 2 shown]
	v_cmp_gt_u32_e64 s0, 9, v192
	v_mul_f64 v[180:181], v[105:106], v[26:27]
	v_mul_f64 v[182:183], v[107:108], v[30:31]
	;; [unrolled: 1-line block ×24, first 2 shown]
	v_fma_f64 v[16:17], v[16:17], v[24:25], v[180:181]
	v_fma_f64 v[18:19], v[18:19], v[28:29], v[182:183]
	v_fma_f64 v[28:29], v[107:108], v[28:29], -v[30:31]
	v_fma_f64 v[30:31], v[105:106], v[24:25], -v[184:185]
	v_fma_f64 v[20:21], v[20:21], v[24:25], v[186:187]
	v_fma_f64 v[12:13], v[12:13], v[24:25], v[196:197]
	;; [unrolled: 1-line block ×10, first 2 shown]
	v_fma_f64 v[32:33], v[111:112], v[32:33], -v[34:35]
	v_fma_f64 v[34:35], v[109:110], v[24:25], -v[190:191]
	;; [unrolled: 1-line block ×10, first 2 shown]
	v_add_f64 v[16:17], v[52:53], -v[16:17]
	v_add_f64 v[30:31], v[153:154], -v[30:31]
	;; [unrolled: 1-line block ×24, first 2 shown]
	v_fma_f64 v[48:49], v[52:53], 2.0, -v[16:17]
	v_fma_f64 v[52:53], v[56:57], 2.0, -v[20:21]
	v_fma_f64 v[56:57], v[60:61], 2.0, -v[12:13]
	v_fma_f64 v[60:61], v[64:65], 2.0, -v[8:9]
	v_fma_f64 v[64:65], v[68:69], 2.0, -v[4:5]
	v_fma_f64 v[68:69], v[72:73], 2.0, -v[0:1]
	v_fma_f64 v[72:73], v[153:154], 2.0, -v[30:31]
	v_fma_f64 v[50:51], v[54:55], 2.0, -v[18:19]
	v_fma_f64 v[54:55], v[58:59], 2.0, -v[22:23]
	v_fma_f64 v[58:59], v[62:63], 2.0, -v[14:15]
	v_fma_f64 v[62:63], v[66:67], 2.0, -v[10:11]
	v_fma_f64 v[66:67], v[70:71], 2.0, -v[6:7]
	v_fma_f64 v[70:71], v[74:75], 2.0, -v[2:3]
	v_fma_f64 v[74:75], v[155:156], 2.0, -v[28:29]
	v_fma_f64 v[105:106], v[157:158], 2.0, -v[34:35]
	v_fma_f64 v[107:108], v[159:160], 2.0, -v[32:33]
	v_fma_f64 v[109:110], v[161:162], 2.0, -v[42:43]
	v_fma_f64 v[111:112], v[163:164], 2.0, -v[40:41]
	v_fma_f64 v[123:124], v[165:166], 2.0, -v[46:47]
	v_fma_f64 v[125:126], v[170:171], 2.0, -v[44:45]
	v_fma_f64 v[141:142], v[172:173], 2.0, -v[38:39]
	v_fma_f64 v[143:144], v[174:175], 2.0, -v[36:37]
	v_fma_f64 v[145:146], v[176:177], 2.0, -v[24:25]
	v_fma_f64 v[147:148], v[178:179], 2.0, -v[26:27]
	ds_write2_b64 v222, v[48:49], v[16:17] offset1:2
	ds_write2_b64 v101, v[50:51], v[18:19] offset1:2
	;; [unrolled: 1-line block ×12, first 2 shown]
	s_waitcnt lgkmcnt(0)
	s_barrier
	buffer_gl0_inv
	ds_read_b64 v[149:150], v129
	ds_read_b64 v[151:152], v130
	;; [unrolled: 1-line block ×12, first 2 shown]
	ds_read2_b64 v[0:3], v133 offset0:116 offset1:179
	ds_read2_b64 v[4:7], v134 offset0:114 offset1:177
	;; [unrolled: 1-line block ×6, first 2 shown]
	s_waitcnt lgkmcnt(0)
	s_barrier
	buffer_gl0_inv
	ds_write2_b64 v222, v[72:73], v[30:31] offset1:2
	ds_write2_b64 v101, v[74:75], v[28:29] offset1:2
	;; [unrolled: 1-line block ×12, first 2 shown]
	s_waitcnt lgkmcnt(0)
	s_barrier
	buffer_gl0_inv
	s_clause 0x3
	global_load_dwordx4 v[24:27], v127, s[8:9] offset:32
	global_load_dwordx4 v[28:31], v167, s[8:9] offset:32
	;; [unrolled: 1-line block ×4, first 2 shown]
	v_lshlrev_b32_e32 v44, 4, v104
	global_load_dwordx4 v[40:43], v218, s[8:9] offset:32
	v_lshlrev_b32_e32 v52, 4, v98
	v_lshlrev_b32_e32 v56, 4, v97
	;; [unrolled: 1-line block ×3, first 2 shown]
	s_clause 0x4
	global_load_dwordx4 v[44:47], v44, s[8:9] offset:32
	global_load_dwordx4 v[48:51], v219, s[8:9] offset:32
	;; [unrolled: 1-line block ×5, first 2 shown]
	v_and_or_b32 v64, 0x78, v92, v102
	v_and_or_b32 v65, 0xf8, v79, v100
	;; [unrolled: 1-line block ×12, first 2 shown]
	v_lshl_add_u32 v127, v64, 3, 0
	v_lshl_add_u32 v148, v65, 3, 0
	;; [unrolled: 1-line block ×12, first 2 shown]
	ds_read2_b64 v[64:67], v134 offset0:114 offset1:177
	ds_read2_b64 v[68:71], v136 offset0:110 offset1:173
	;; [unrolled: 1-line block ×6, first 2 shown]
	ds_read_b64 v[77:78], v77
	ds_read_b64 v[79:80], v80
	;; [unrolled: 1-line block ×12, first 2 shown]
	v_and_b32_e32 v113, 7, v132
	v_and_b32_e32 v124, 7, v128
	v_add_nc_u32_e32 v141, 0x1000, v129
	s_waitcnt vmcnt(0) lgkmcnt(0)
	s_barrier
	v_lshlrev_b32_e32 v91, 5, v113
	v_lshlrev_b32_e32 v123, 5, v124
	buffer_gl0_inv
	v_mul_f64 v[144:145], v[66:67], v[30:31]
	v_mul_f64 v[142:143], v[64:65], v[26:27]
	;; [unrolled: 1-line block ×24, first 2 shown]
	v_fma_f64 v[4:5], v[4:5], v[24:25], v[142:143]
	v_fma_f64 v[24:25], v[64:65], v[24:25], -v[26:27]
	v_fma_f64 v[0:1], v[0:1], v[36:37], v[146:147]
	v_fma_f64 v[6:7], v[6:7], v[28:29], v[144:145]
	v_fma_f64 v[26:27], v[66:67], v[28:29], -v[30:31]
	v_fma_f64 v[28:29], v[72:73], v[36:37], -v[198:199]
	v_fma_f64 v[2:3], v[2:3], v[32:33], v[176:177]
	v_fma_f64 v[30:31], v[74:75], v[32:33], -v[34:35]
	v_fma_f64 v[8:9], v[8:9], v[36:37], v[180:181]
	v_fma_f64 v[12:13], v[12:13], v[40:41], v[178:179]
	v_fma_f64 v[32:33], v[68:69], v[40:41], -v[42:43]
	v_fma_f64 v[40:41], v[81:82], v[36:37], -v[200:201]
	v_fma_f64 v[10:11], v[10:11], v[44:45], v[182:183]
	v_fma_f64 v[42:43], v[83:84], v[44:45], -v[46:47]
	v_fma_f64 v[14:15], v[14:15], v[48:49], v[184:185]
	;; [unrolled: 2-line block ×6, first 2 shown]
	v_fma_f64 v[46:47], v[95:96], v[60:61], -v[62:63]
	v_add_f64 v[0:1], v[149:150], -v[0:1]
	v_add_f64 v[4:5], v[153:154], -v[4:5]
	;; [unrolled: 1-line block ×24, first 2 shown]
	v_fma_f64 v[24:25], v[149:150], 2.0, -v[0:1]
	v_fma_f64 v[72:73], v[99:100], 2.0, -v[28:29]
	;; [unrolled: 1-line block ×24, first 2 shown]
	ds_write2_b64 v127, v[24:25], v[0:1] offset1:4
	ds_write2_b64 v148, v[26:27], v[2:3] offset1:4
	;; [unrolled: 1-line block ×12, first 2 shown]
	s_waitcnt lgkmcnt(0)
	s_barrier
	buffer_gl0_inv
	ds_read_b64 v[103:104], v129
	ds_read2_b64 v[0:3], v134 offset0:177 offset1:240
	ds_read2_b64 v[24:27], v141 offset0:55 offset1:118
	;; [unrolled: 1-line block ×4, first 2 shown]
	ds_read_b64 v[101:102], v122
	ds_read_b64 v[99:100], v120
	;; [unrolled: 1-line block ×8, first 2 shown]
	ds_read_b64 v[109:110], v129 offset:11592
	ds_read2_b64 v[16:19], v136 offset0:173 offset1:236
	ds_read2_b64 v[12:15], v134 offset0:51 offset1:114
	;; [unrolled: 1-line block ×3, first 2 shown]
	s_waitcnt lgkmcnt(0)
	s_barrier
	buffer_gl0_inv
	ds_write2_b64 v127, v[72:73], v[28:29] offset1:4
	ds_write2_b64 v148, v[74:75], v[30:31] offset1:4
	;; [unrolled: 1-line block ×12, first 2 shown]
	s_waitcnt lgkmcnt(0)
	s_barrier
	buffer_gl0_inv
	s_clause 0x2
	global_load_dwordx4 v[28:31], v91, s[8:9] offset:96
	global_load_dwordx4 v[60:63], v91, s[8:9] offset:112
	;; [unrolled: 1-line block ×3, first 2 shown]
	v_and_b32_e32 v148, 7, v193
	v_and_b32_e32 v149, 7, v115
	;; [unrolled: 1-line block ×5, first 2 shown]
	v_lshlrev_b32_e32 v36, 5, v148
	s_clause 0x1
	global_load_dwordx4 v[56:59], v123, s[8:9] offset:112
	global_load_dwordx4 v[48:51], v36, s[8:9] offset:96
	v_lshlrev_b32_e32 v37, 5, v149
	v_lshlrev_b32_e32 v72, 5, v150
	;; [unrolled: 1-line block ×4, first 2 shown]
	v_and_b32_e32 v153, 7, v117
	s_clause 0x7
	global_load_dwordx4 v[52:55], v37, s[8:9] offset:96
	global_load_dwordx4 v[44:47], v36, s[8:9] offset:112
	;; [unrolled: 1-line block ×8, first 2 shown]
	v_lshlrev_b32_e32 v88, 5, v153
	s_clause 0x2
	global_load_dwordx4 v[76:79], v76, s[8:9] offset:112
	global_load_dwordx4 v[84:87], v88, s[8:9] offset:96
	;; [unrolled: 1-line block ×3, first 2 shown]
	v_lshrrev_b32_e32 v142, 3, v192
	v_lshrrev_b32_e32 v143, 3, v132
	;; [unrolled: 1-line block ×3, first 2 shown]
	v_and_b32_e32 v155, 0xff, v132
	v_and_b32_e32 v125, 0xff, v128
	v_lshrrev_b32_e32 v145, 3, v193
	v_lshrrev_b32_e32 v151, 3, v114
	v_lshrrev_b32_e32 v154, 3, v117
	v_lshrrev_b32_e32 v146, 3, v115
	v_mov_b32_e32 v156, 0xaaab
	v_and_b32_e32 v157, 0xff, v192
	v_mul_u32_u24_e32 v142, 24, v142
	v_mul_lo_u32 v158, v143, 24
	v_mul_lo_u32 v159, v144, 24
	v_mul_lo_u16 v143, 0xab, v155
	v_mul_lo_u16 v144, 0xab, v125
	v_mul_lo_u32 v160, v145, 24
	v_mul_lo_u32 v163, v151, 24
	;; [unrolled: 1-line block ×4, first 2 shown]
	v_mul_u32_u24_sdwa v146, v115, v156 dst_sel:DWORD dst_unused:UNUSED_PAD src0_sel:WORD_0 src1_sel:DWORD
	v_mul_u32_u24_sdwa v151, v114, v156 dst_sel:DWORD dst_unused:UNUSED_PAD src0_sel:WORD_0 src1_sel:DWORD
	v_mul_lo_u16 v155, 0xab, v157
	v_or_b32_e32 v157, v142, v127
	v_lshrrev_b16 v127, 12, v143
	v_lshrrev_b16 v142, 12, v144
	v_lshrrev_b32_e32 v144, 20, v146
	v_lshrrev_b32_e32 v146, 20, v151
	v_lshrrev_b16 v151, 12, v155
	v_or_b32_e32 v124, v159, v124
	v_or_b32_e32 v148, v160, v148
	;; [unrolled: 1-line block ×4, first 2 shown]
	v_mul_lo_u16 v154, v127, 24
	v_mul_lo_u16 v155, v142, 24
	v_lshl_add_u32 v232, v124, 3, 0
	v_lshl_add_u32 v233, v148, 3, 0
	;; [unrolled: 1-line block ×4, first 2 shown]
	v_sub_nc_u16 v124, v132, v154
	v_sub_nc_u16 v148, v128, v155
	ds_read2_b64 v[152:155], v141 offset0:55 offset1:118
	v_and_b32_e32 v126, 0xff, v193
	v_lshrrev_b32_e32 v147, 3, v116
	v_or_b32_e32 v149, v161, v149
	v_lshl_add_u32 v228, v157, 3, 0
	v_mul_lo_u16 v157, v144, 24
	v_mul_lo_u16 v145, 0xab, v126
	v_mul_lo_u32 v162, v147, 24
	v_mul_u32_u24_sdwa v147, v116, v156 dst_sel:DWORD dst_unused:UNUSED_PAD src0_sel:WORD_0 src1_sel:DWORD
	v_mul_u32_u24_sdwa v156, v117, v156 dst_sel:DWORD dst_unused:UNUSED_PAD src0_sel:WORD_0 src1_sel:DWORD
	v_or_b32_e32 v113, v158, v113
	v_lshrrev_b16 v143, 12, v145
	v_lshl_add_u32 v234, v149, 3, 0
	v_lshrrev_b32_e32 v145, 20, v147
	v_lshrrev_b32_e32 v147, 20, v156
	v_or_b32_e32 v150, v162, v150
	v_mul_lo_u16 v156, v143, 24
	v_mov_b32_e32 v123, 5
	v_lshl_add_u32 v231, v113, 3, 0
	v_mul_lo_u16 v229, v145, 24
	v_lshl_add_u32 v235, v150, 3, 0
	v_sub_nc_u16 v149, v193, v156
	v_sub_nc_u16 v150, v115, v157
	ds_read2_b64 v[156:159], v136 offset0:47 offset1:110
	ds_read2_b64 v[160:163], v141 offset0:181 offset1:244
	;; [unrolled: 1-line block ×5, first 2 shown]
	ds_read_b64 v[182:183], v119
	ds_read_b64 v[184:185], v118
	ds_read2_b64 v[178:181], v134 offset0:177 offset1:240
	ds_read_b64 v[186:187], v131
	ds_read_b64 v[188:189], v130
	ds_read_b64 v[190:191], v129 offset:11592
	ds_read_b64 v[196:197], v129
	ds_read_b64 v[198:199], v122
	;; [unrolled: 1-line block ×5, first 2 shown]
	v_lshlrev_b32_sdwa v238, v123, v124 dst_sel:DWORD dst_unused:UNUSED_PAD src0_sel:DWORD src1_sel:BYTE_0
	v_lshlrev_b32_sdwa v239, v123, v148 dst_sel:DWORD dst_unused:UNUSED_PAD src0_sel:DWORD src1_sel:BYTE_0
	s_waitcnt vmcnt(0) lgkmcnt(0)
	s_barrier
	buffer_gl0_inv
	v_mul_lo_u16 v230, v151, 24
	v_mul_u32_u24_e32 v144, 0x240, v144
	v_mul_u32_u24_e32 v145, 0x240, v145
	v_mul_lo_u16 v125, v125, 57
	v_mul_lo_u16 v126, v126, 57
	v_lshrrev_b16 v125, 12, v125
	v_lshrrev_b16 v126, 12, v126
	v_mul_f64 v[206:207], v[152:153], v[30:31]
	v_mul_f64 v[30:31], v[24:25], v[30:31]
	;; [unrolled: 1-line block ×14, first 2 shown]
	v_fma_f64 v[24:25], v[24:25], v[28:29], v[206:207]
	v_fma_f64 v[28:29], v[152:153], v[28:29], -v[30:31]
	v_mul_f64 v[30:31], v[111:112], v[66:67]
	v_mul_f64 v[66:67], v[2:3], v[70:71]
	v_mul_f64 v[218:219], v[164:165], v[46:47]
	v_mul_f64 v[222:223], v[170:171], v[42:43]
	v_fma_f64 v[26:27], v[26:27], v[32:33], v[208:209]
	v_mul_f64 v[70:71], v[172:173], v[82:83]
	v_fma_f64 v[32:33], v[154:155], v[32:33], -v[34:35]
	v_mul_f64 v[34:35], v[14:15], v[82:83]
	v_mul_f64 v[82:83], v[174:175], v[74:75]
	;; [unrolled: 1-line block ×8, first 2 shown]
	v_fma_f64 v[20:21], v[20:21], v[60:61], v[210:211]
	v_fma_f64 v[60:61], v[156:157], v[60:61], -v[62:63]
	v_mul_f64 v[62:63], v[10:11], v[78:79]
	v_mul_f64 v[78:79], v[178:179], v[86:87]
	;; [unrolled: 1-line block ×3, first 2 shown]
	v_fma_f64 v[22:23], v[22:23], v[56:57], v[212:213]
	v_mul_f64 v[86:87], v[0:1], v[86:87]
	v_fma_f64 v[56:57], v[158:159], v[56:57], -v[58:59]
	v_mul_f64 v[58:59], v[109:110], v[90:91]
	v_fma_f64 v[90:91], v[111:112], v[64:65], v[224:225]
	v_fma_f64 v[2:3], v[2:3], v[68:69], v[226:227]
	v_fma_f64 v[30:31], v[182:183], v[64:65], -v[30:31]
	v_fma_f64 v[64:65], v[180:181], v[68:69], -v[66:67]
	v_fma_f64 v[6:7], v[6:7], v[52:53], v[216:217]
	v_fma_f64 v[18:19], v[18:19], v[36:37], v[220:221]
	;; [unrolled: 1-line block ×6, first 2 shown]
	v_fma_f64 v[48:49], v[160:161], v[48:49], -v[50:51]
	v_fma_f64 v[44:45], v[164:165], v[44:45], -v[46:47]
	;; [unrolled: 1-line block ×5, first 2 shown]
	v_fma_f64 v[14:15], v[14:15], v[80:81], v[70:71]
	v_fma_f64 v[40:41], v[174:175], v[72:73], -v[74:75]
	v_fma_f64 v[10:11], v[10:11], v[76:77], v[152:153]
	v_fma_f64 v[34:35], v[172:173], v[80:81], -v[34:35]
	v_fma_f64 v[42:43], v[176:177], v[76:77], -v[62:63]
	v_fma_f64 v[0:1], v[0:1], v[84:85], v[78:79]
	v_fma_f64 v[52:53], v[109:110], v[88:89], v[154:155]
	v_fma_f64 v[46:47], v[178:179], v[84:85], -v[86:87]
	v_fma_f64 v[54:55], v[190:191], v[88:89], -v[58:59]
	v_add_f64 v[58:59], v[90:91], v[2:3]
	v_add_f64 v[66:67], v[30:31], -v[64:65]
	v_add_f64 v[156:157], v[196:197], v[30:31]
	v_add_f64 v[30:31], v[30:31], v[64:65]
	;; [unrolled: 1-line block ×9, first 2 shown]
	v_add_f64 v[78:79], v[32:33], -v[56:57]
	v_add_f64 v[80:81], v[4:5], v[16:17]
	v_add_f64 v[111:112], v[12:13], v[8:9]
	;; [unrolled: 1-line block ×4, first 2 shown]
	v_add_f64 v[84:85], v[48:49], -v[44:45]
	v_add_f64 v[176:177], v[198:199], v[48:49]
	v_add_f64 v[48:49], v[48:49], v[44:45]
	v_add_f64 v[72:73], v[28:29], -v[60:61]
	v_add_f64 v[28:29], v[188:189], v[28:29]
	v_add_f64 v[178:179], v[50:51], v[36:37]
	;; [unrolled: 1-line block ×10, first 2 shown]
	v_add_f64 v[90:91], v[90:91], -v[2:3]
	v_add_f64 v[160:161], v[34:35], -v[42:43]
	v_add_f64 v[34:35], v[204:205], v[34:35]
	v_fma_f64 v[58:59], v[58:59], -0.5, v[103:104]
	v_fma_f64 v[30:31], v[30:31], -0.5, v[196:197]
	v_add_f64 v[154:155], v[38:39], -v[40:41]
	v_add_f64 v[164:165], v[46:47], -v[54:55]
	v_add_f64 v[38:39], v[202:203], v[38:39]
	v_add_f64 v[46:47], v[184:185], v[46:47]
	v_add_f64 v[109:110], v[50:51], -v[36:37]
	v_add_f64 v[24:25], v[24:25], -v[20:21]
	v_add_f64 v[50:51], v[200:201], v[50:51]
	v_add_f64 v[2:3], v[62:63], v[2:3]
	v_fma_f64 v[62:63], v[68:69], -0.5, v[107:108]
	v_fma_f64 v[68:69], v[74:75], -0.5, v[105:106]
	;; [unrolled: 1-line block ×4, first 2 shown]
	v_add_f64 v[26:27], v[26:27], -v[22:23]
	v_add_f64 v[20:21], v[70:71], v[20:21]
	v_add_f64 v[22:23], v[76:77], v[22:23]
	v_fma_f64 v[70:71], v[80:81], -0.5, v[101:102]
	v_fma_f64 v[76:77], v[111:112], -0.5, v[97:98]
	;; [unrolled: 1-line block ×3, first 2 shown]
	v_add_f64 v[4:5], v[4:5], -v[16:17]
	v_fma_f64 v[48:49], v[48:49], -0.5, v[198:199]
	v_add_f64 v[6:7], v[6:7], -v[18:19]
	v_add_f64 v[28:29], v[28:29], v[60:61]
	v_fma_f64 v[60:61], v[178:179], -0.5, v[200:201]
	v_add_f64 v[12:13], v[12:13], -v[8:9]
	v_add_f64 v[18:19], v[88:89], v[18:19]
	v_fma_f64 v[80:81], v[158:159], -0.5, v[93:94]
	v_fma_f64 v[88:89], v[180:181], -0.5, v[202:203]
	v_add_f64 v[166:167], v[93:94], v[14:15]
	v_add_f64 v[14:15], v[14:15], -v[10:11]
	v_fma_f64 v[93:94], v[182:183], -0.5, v[204:205]
	v_add_f64 v[16:17], v[82:83], v[16:17]
	v_fma_f64 v[82:83], v[162:163], -0.5, v[95:96]
	v_add_f64 v[170:171], v[95:96], v[0:1]
	v_add_f64 v[0:1], v[0:1], -v[52:53]
	v_fma_f64 v[95:96], v[190:191], -0.5, v[184:185]
	v_add_f64 v[8:9], v[152:153], v[8:9]
	v_add_f64 v[64:65], v[156:157], v[64:65]
	;; [unrolled: 1-line block ×3, first 2 shown]
	v_fma_f64 v[42:43], v[66:67], s[4:5], v[58:59]
	v_fma_f64 v[152:153], v[90:91], s[6:7], v[30:31]
	v_add_f64 v[38:39], v[38:39], v[40:41]
	v_add_f64 v[40:41], v[46:47], v[54:55]
	v_fma_f64 v[46:47], v[66:67], s[6:7], v[58:59]
	v_fma_f64 v[30:31], v[90:91], s[4:5], v[30:31]
	v_add_f64 v[36:37], v[50:51], v[36:37]
	v_fma_f64 v[50:51], v[72:73], s[4:5], v[62:63]
	v_fma_f64 v[90:91], v[24:25], s[6:7], v[86:87]
	;; [unrolled: 1-line block ×4, first 2 shown]
	v_add_f64 v[56:57], v[174:175], v[56:57]
	v_fma_f64 v[58:59], v[78:79], s[4:5], v[68:69]
	v_fma_f64 v[62:63], v[78:79], s[6:7], v[68:69]
	;; [unrolled: 1-line block ×10, first 2 shown]
	v_add_f64 v[44:45], v[176:177], v[44:45]
	v_fma_f64 v[156:157], v[4:5], s[6:7], v[48:49]
	v_fma_f64 v[48:49], v[4:5], s[4:5], v[48:49]
	;; [unrolled: 1-line block ×8, first 2 shown]
	v_add_f64 v[10:11], v[166:167], v[10:11]
	v_fma_f64 v[162:163], v[14:15], s[6:7], v[93:94]
	v_fma_f64 v[84:85], v[164:165], s[4:5], v[82:83]
	v_fma_f64 v[82:83], v[164:165], s[6:7], v[82:83]
	v_fma_f64 v[164:165], v[14:15], s[4:5], v[93:94]
	v_add_f64 v[52:53], v[170:171], v[52:53]
	v_fma_f64 v[166:167], v[0:1], s[6:7], v[95:96]
	v_fma_f64 v[170:171], v[0:1], s[4:5], v[95:96]
	ds_write2_b64 v228, v[2:3], v[42:43] offset1:8
	ds_write_b64 v228, v[46:47] offset:128
	ds_write2_b64 v231, v[20:21], v[50:51] offset1:8
	ds_write_b64 v231, v[54:55] offset:128
	ds_write2_b64 v232, v[22:23], v[58:59] offset1:8
	ds_write_b64 v232, v[62:63] offset:128
	ds_write2_b64 v233, v[16:17], v[66:67] offset1:8
	ds_write_b64 v233, v[68:69] offset:128
	ds_write2_b64 v234, v[18:19], v[70:71] offset1:8
	ds_write_b64 v234, v[72:73] offset:128
	ds_write2_b64 v235, v[8:9], v[74:75] offset1:8
	ds_write_b64 v235, v[76:77] offset:128
	ds_write2_b64 v236, v[10:11], v[78:79] offset1:8
	ds_write_b64 v236, v[80:81] offset:128
	ds_write2_b64 v237, v[52:53], v[84:85] offset1:8
	ds_write_b64 v237, v[82:83] offset:128
	s_waitcnt lgkmcnt(0)
	s_barrier
	buffer_gl0_inv
	ds_read_b64 v[104:105], v129
	ds_read_b64 v[102:103], v122
	;; [unrolled: 1-line block ×9, first 2 shown]
	ds_read_b64 v[110:111], v129 offset:11592
	ds_read2_b64 v[0:3], v134 offset0:177 offset1:240
	ds_read2_b64 v[24:27], v141 offset0:55 offset1:118
	;; [unrolled: 1-line block ×7, first 2 shown]
	s_waitcnt lgkmcnt(0)
	s_barrier
	buffer_gl0_inv
	ds_write2_b64 v228, v[64:65], v[152:153] offset1:8
	ds_write_b64 v228, v[30:31] offset:128
	ds_write2_b64 v231, v[28:29], v[90:91] offset1:8
	ds_write_b64 v231, v[86:87] offset:128
	ds_write2_b64 v232, v[56:57], v[154:155] offset1:8
	ds_write_b64 v232, v[32:33] offset:128
	ds_write2_b64 v233, v[44:45], v[156:157] offset1:8
	ds_write_b64 v233, v[48:49] offset:128
	ds_write2_b64 v234, v[36:37], v[158:159] offset1:8
	ds_write_b64 v234, v[60:61] offset:128
	ds_write2_b64 v235, v[38:39], v[160:161] offset1:8
	ds_write_b64 v235, v[88:89] offset:128
	ds_write2_b64 v236, v[34:35], v[162:163] offset1:8
	ds_write_b64 v236, v[164:165] offset:128
	ds_write2_b64 v237, v[40:41], v[166:167] offset1:8
	ds_write_b64 v237, v[170:171] offset:128
	s_waitcnt lgkmcnt(0)
	s_barrier
	buffer_gl0_inv
	s_clause 0x3
	global_load_dwordx4 v[84:87], v238, s[8:9] offset:352
	global_load_dwordx4 v[68:71], v238, s[8:9] offset:368
	;; [unrolled: 1-line block ×4, first 2 shown]
	v_mul_lo_u16 v37, v146, 24
	v_sub_nc_u16 v153, v116, v229
	v_sub_nc_u16 v154, v192, v230
	v_mul_lo_u16 v50, v147, 24
	v_lshlrev_b32_sdwa v28, v123, v149 dst_sel:DWORD dst_unused:UNUSED_PAD src0_sel:DWORD src1_sel:BYTE_0
	v_sub_nc_u16 v155, v114, v37
	v_lshlrev_b32_sdwa v36, v123, v150 dst_sel:DWORD dst_unused:UNUSED_PAD src0_sel:DWORD src1_sel:WORD_0
	v_lshlrev_b32_sdwa v48, v123, v153 dst_sel:DWORD dst_unused:UNUSED_PAD src0_sel:DWORD src1_sel:WORD_0
	v_lshlrev_b32_sdwa v49, v123, v154 dst_sel:DWORD dst_unused:UNUSED_PAD src0_sel:DWORD src1_sel:BYTE_0
	v_sub_nc_u16 v156, v117, v50
	v_lshlrev_b32_sdwa v51, v123, v155 dst_sel:DWORD dst_unused:UNUSED_PAD src0_sel:DWORD src1_sel:WORD_0
	s_clause 0x7
	global_load_dwordx4 v[32:35], v28, s[8:9] offset:352
	global_load_dwordx4 v[40:43], v36, s[8:9] offset:352
	;; [unrolled: 1-line block ×8, first 2 shown]
	v_lshlrev_b32_sdwa v88, v123, v156 dst_sel:DWORD dst_unused:UNUSED_PAD src0_sel:DWORD src1_sel:WORD_0
	s_clause 0x3
	global_load_dwordx4 v[52:55], v48, s[8:9] offset:368
	global_load_dwordx4 v[48:51], v51, s[8:9] offset:368
	;; [unrolled: 1-line block ×4, first 2 shown]
	v_add_nc_u32_e32 v157, -9, v192
	v_mov_b32_e32 v93, 0
	v_mov_b32_e32 v158, 0x240
	;; [unrolled: 1-line block ×4, first 2 shown]
	v_cndmask_b32_e64 v157, v157, v132, s0
	v_lshlrev_b64 v[162:163], 4, v[92:93]
	v_mul_u32_u24_sdwa v151, v151, v158 dst_sel:DWORD dst_unused:UNUSED_PAD src0_sel:WORD_0 src1_sel:DWORD
	v_mul_u32_u24_sdwa v127, v127, v158 dst_sel:DWORD dst_unused:UNUSED_PAD src0_sel:WORD_0 src1_sel:DWORD
	v_lshlrev_b32_sdwa v124, v152, v124 dst_sel:DWORD dst_unused:UNUSED_PAD src0_sel:DWORD src1_sel:BYTE_0
	v_lshlrev_b32_e32 v92, 1, v157
	v_mul_u32_u24_sdwa v160, v115, v159 dst_sel:DWORD dst_unused:UNUSED_PAD src0_sel:WORD_0 src1_sel:DWORD
	v_add_co_u32 v166, s0, s8, v162
	v_mul_u32_u24_sdwa v162, v142, v158 dst_sel:DWORD dst_unused:UNUSED_PAD src0_sel:WORD_0 src1_sel:DWORD
	v_mul_u32_u24_sdwa v158, v143, v158 dst_sel:DWORD dst_unused:UNUSED_PAD src0_sel:WORD_0 src1_sel:DWORD
	v_lshlrev_b64 v[142:143], 4, v[92:93]
	v_add_co_ci_u32_e64 v167, s0, s9, v163, s0
	v_add3_u32 v124, 0, v127, v124
	v_mul_u32_u24_sdwa v161, v116, v159 dst_sel:DWORD dst_unused:UNUSED_PAD src0_sel:WORD_0 src1_sel:DWORD
	v_mul_u32_u24_sdwa v164, v114, v159 dst_sel:DWORD dst_unused:UNUSED_PAD src0_sel:WORD_0 src1_sel:DWORD
	v_add_co_u32 v182, s0, s8, v142
	v_add_co_ci_u32_e64 v183, s0, s9, v143, s0
	v_lshlrev_b32_sdwa v142, v152, v154 dst_sel:DWORD dst_unused:UNUSED_PAD src0_sel:DWORD src1_sel:BYTE_0
	v_lshlrev_b32_sdwa v143, v152, v148 dst_sel:DWORD dst_unused:UNUSED_PAD src0_sel:DWORD src1_sel:BYTE_0
	;; [unrolled: 1-line block ×3, first 2 shown]
	v_lshlrev_b32_sdwa v149, v152, v150 dst_sel:DWORD dst_unused:UNUSED_PAD src0_sel:DWORD src1_sel:WORD_0
	v_lshlrev_b32_sdwa v150, v152, v153 dst_sel:DWORD dst_unused:UNUSED_PAD src0_sel:DWORD src1_sel:WORD_0
	v_add3_u32 v230, 0, v151, v142
	v_add3_u32 v127, 0, v162, v143
	v_mul_u32_u24_sdwa v165, v117, v159 dst_sel:DWORD dst_unused:UNUSED_PAD src0_sel:WORD_0 src1_sel:DWORD
	v_add3_u32 v231, 0, v144, v149
	v_add3_u32 v232, 0, v145, v150
	ds_read2_b64 v[142:145], v141 offset0:55 offset1:118
	v_lshrrev_b32_e32 v159, 22, v160
	v_lshrrev_b32_e32 v160, 22, v161
	v_lshrrev_b32_e32 v161, 22, v164
	v_lshrrev_b32_e32 v164, 22, v165
	v_mul_u32_u24_e32 v146, 0x240, v146
	v_mul_u32_u24_e32 v147, 0x240, v147
	v_mul_lo_u16 v163, 0x48, v125
	v_mul_lo_u16 v165, 0x48, v159
	;; [unrolled: 1-line block ×4, first 2 shown]
	v_lshlrev_b32_sdwa v153, v152, v155 dst_sel:DWORD dst_unused:UNUSED_PAD src0_sel:DWORD src1_sel:WORD_0
	v_lshlrev_b32_sdwa v154, v152, v156 dst_sel:DWORD dst_unused:UNUSED_PAD src0_sel:DWORD src1_sel:WORD_0
	v_sub_nc_u16 v92, v128, v163
	v_sub_nc_u16 v115, v115, v165
	;; [unrolled: 1-line block ×4, first 2 shown]
	v_add3_u32 v158, 0, v158, v148
	v_add3_u32 v233, 0, v146, v153
	;; [unrolled: 1-line block ×3, first 2 shown]
	ds_read2_b64 v[146:149], v136 offset0:47 offset1:110
	ds_read2_b64 v[153:156], v141 offset0:181 offset1:244
	ds_read2_b64 v[162:165], v136 offset0:173 offset1:236
	ds_read2_b64 v[170:173], v134 offset0:51 offset1:114
	ds_read2_b64 v[174:177], v137 offset0:43 offset1:106
	ds_read2_b64 v[178:181], v134 offset0:177 offset1:240
	ds_read_b64 v[150:151], v119
	ds_read_b64 v[184:185], v118
	;; [unrolled: 1-line block ×4, first 2 shown]
	ds_read_b64 v[190:191], v129 offset:11592
	ds_read_b64 v[196:197], v129
	ds_read_b64 v[198:199], v122
	;; [unrolled: 1-line block ×5, first 2 shown]
	v_mul_lo_u16 v93, 0x48, v126
	v_mul_lo_u16 v228, 0x48, v161
	s_waitcnt vmcnt(0) lgkmcnt(0)
	s_barrier
	buffer_gl0_inv
	v_sub_nc_u16 v93, v193, v93
	v_lshlrev_b32_sdwa v229, v123, v92 dst_sel:DWORD dst_unused:UNUSED_PAD src0_sel:DWORD src1_sel:BYTE_0
	v_cmp_lt_u32_e64 s0, 8, v192
	v_mul_f64 v[206:207], v[142:143], v[86:87]
	v_mul_f64 v[86:87], v[24:25], v[86:87]
	;; [unrolled: 1-line block ×16, first 2 shown]
	v_fma_f64 v[24:25], v[24:25], v[84:85], v[206:207]
	v_fma_f64 v[84:85], v[142:143], v[84:85], -v[86:87]
	v_mul_f64 v[86:87], v[172:173], v[58:59]
	v_fma_f64 v[26:27], v[26:27], v[76:77], v[208:209]
	v_fma_f64 v[76:77], v[144:145], v[76:77], -v[78:79]
	v_mul_f64 v[78:79], v[176:177], v[50:51]
	v_mul_f64 v[30:31], v[12:13], v[30:31]
	;; [unrolled: 1-line block ×7, first 2 shown]
	v_fma_f64 v[20:21], v[20:21], v[68:69], v[210:211]
	v_fma_f64 v[68:69], v[146:147], v[68:69], -v[70:71]
	v_mul_f64 v[70:71], v[190:191], v[90:91]
	v_mul_f64 v[34:35], v[16:17], v[34:35]
	;; [unrolled: 1-line block ×8, first 2 shown]
	v_fma_f64 v[22:23], v[22:23], v[60:61], v[212:213]
	v_fma_f64 v[60:61], v[148:149], v[60:61], -v[62:63]
	v_fma_f64 v[2:3], v[2:3], v[72:73], v[224:225]
	v_fma_f64 v[62:63], v[112:113], v[80:81], v[226:227]
	;; [unrolled: 1-line block ×3, first 2 shown]
	v_fma_f64 v[72:73], v[180:181], v[72:73], -v[74:75]
	v_fma_f64 v[74:75], v[150:151], v[80:81], -v[82:83]
	v_fma_f64 v[18:19], v[18:19], v[40:41], v[216:217]
	v_fma_f64 v[12:13], v[12:13], v[28:29], v[218:219]
	;; [unrolled: 1-line block ×5, first 2 shown]
	v_fma_f64 v[28:29], v[162:163], v[28:29], -v[30:31]
	v_fma_f64 v[30:31], v[164:165], v[36:37], -v[38:39]
	v_fma_f64 v[8:9], v[8:9], v[44:45], v[222:223]
	v_fma_f64 v[36:37], v[170:171], v[44:45], -v[46:47]
	v_fma_f64 v[4:5], v[4:5], v[52:53], v[142:143]
	v_fma_f64 v[0:1], v[0:1], v[64:65], v[144:145]
	;; [unrolled: 1-line block ×3, first 2 shown]
	v_fma_f64 v[32:33], v[153:154], v[32:33], -v[34:35]
	v_fma_f64 v[34:35], v[155:156], v[40:41], -v[42:43]
	;; [unrolled: 1-line block ×7, first 2 shown]
	v_add_f64 v[50:51], v[62:63], v[2:3]
	v_add_f64 v[52:53], v[104:105], v[62:63]
	;; [unrolled: 1-line block ×3, first 2 shown]
	v_add_f64 v[54:55], v[74:75], -v[72:73]
	v_add_f64 v[58:59], v[108:109], v[24:25]
	v_add_f64 v[66:67], v[26:27], v[22:23]
	;; [unrolled: 1-line block ×12, first 2 shown]
	v_add_f64 v[78:79], v[76:77], -v[60:61]
	v_add_f64 v[172:173], v[186:187], v[76:77]
	v_add_f64 v[76:77], v[76:77], v[60:61]
	v_add_f64 v[64:65], v[84:85], -v[68:69]
	v_add_f64 v[84:85], v[188:189], v[84:85]
	v_add_f64 v[174:175], v[32:33], v[28:29]
	;; [unrolled: 1-line block ×7, first 2 shown]
	v_add_f64 v[86:87], v[32:33], -v[28:29]
	v_add_f64 v[32:33], v[198:199], v[32:33]
	v_fma_f64 v[50:51], v[50:51], -0.5, v[104:105]
	v_add_f64 v[110:111], v[34:35], -v[30:31]
	v_add_f64 v[34:35], v[200:201], v[34:35]
	v_add_f64 v[62:63], v[62:63], -v[2:3]
	v_add_f64 v[2:3], v[52:53], v[2:3]
	v_fma_f64 v[52:53], v[56:57], -0.5, v[108:109]
	v_add_f64 v[144:145], v[36:37], -v[40:41]
	v_add_f64 v[150:151], v[38:39], -v[42:43]
	;; [unrolled: 1-line block ×3, first 2 shown]
	v_add_f64 v[36:37], v[202:203], v[36:37]
	v_add_f64 v[20:21], v[58:59], v[20:21]
	v_fma_f64 v[56:57], v[66:67], -0.5, v[106:107]
	v_fma_f64 v[58:59], v[80:81], -0.5, v[102:103]
	v_fma_f64 v[66:67], v[88:89], -0.5, v[100:101]
	v_fma_f64 v[80:81], v[146:147], -0.5, v[96:97]
	v_fma_f64 v[74:75], v[74:75], -0.5, v[196:197]
	v_add_f64 v[38:39], v[204:205], v[38:39]
	v_add_f64 v[162:163], v[44:45], -v[48:49]
	v_add_f64 v[44:45], v[184:185], v[44:45]
	v_fma_f64 v[88:89], v[170:171], -0.5, v[188:189]
	v_add_f64 v[26:27], v[26:27], -v[22:23]
	v_add_f64 v[16:17], v[16:17], -v[12:13]
	v_add_f64 v[22:23], v[70:71], v[22:23]
	v_add_f64 v[12:13], v[82:83], v[12:13]
	v_fma_f64 v[70:71], v[112:113], -0.5, v[98:99]
	v_fma_f64 v[82:83], v[155:156], -0.5, v[94:95]
	;; [unrolled: 1-line block ×3, first 2 shown]
	v_add_f64 v[142:143], v[98:99], v[8:9]
	v_add_f64 v[68:69], v[84:85], v[68:69]
	v_fma_f64 v[84:85], v[174:175], -0.5, v[198:199]
	v_add_f64 v[148:149], v[96:97], v[10:11]
	v_add_f64 v[18:19], v[18:19], -v[14:15]
	v_add_f64 v[14:15], v[90:91], v[14:15]
	v_fma_f64 v[90:91], v[176:177], -0.5, v[200:201]
	v_add_f64 v[164:165], v[94:95], v[0:1]
	v_add_f64 v[8:9], v[8:9], -v[4:5]
	v_fma_f64 v[94:95], v[178:179], -0.5, v[202:203]
	v_add_f64 v[10:11], v[10:11], -v[6:7]
	v_fma_f64 v[96:97], v[180:181], -0.5, v[204:205]
	v_add_f64 v[0:1], v[0:1], -v[46:47]
	v_fma_f64 v[98:99], v[190:191], -0.5, v[184:185]
	v_add_f64 v[100:101], v[32:33], v[28:29]
	v_fma_f64 v[28:29], v[54:55], s[4:5], v[50:51]
	v_add_f64 v[102:103], v[34:35], v[30:31]
	v_fma_f64 v[30:31], v[54:55], s[6:7], v[50:51]
	v_fma_f64 v[32:33], v[64:65], s[4:5], v[52:53]
	;; [unrolled: 1-line block ×3, first 2 shown]
	v_add_f64 v[72:73], v[153:154], v[72:73]
	v_add_f64 v[40:41], v[36:37], v[40:41]
	v_fma_f64 v[36:37], v[78:79], s[4:5], v[56:57]
	v_fma_f64 v[52:53], v[110:111], s[4:5], v[66:67]
	;; [unrolled: 1-line block ×6, first 2 shown]
	v_add_f64 v[42:43], v[38:39], v[42:43]
	v_fma_f64 v[38:39], v[78:79], s[6:7], v[56:57]
	v_fma_f64 v[62:63], v[62:63], s[4:5], v[74:75]
	v_add_f64 v[44:45], v[44:45], v[48:49]
	v_fma_f64 v[48:49], v[86:87], s[4:5], v[58:59]
	v_fma_f64 v[74:75], v[24:25], s[6:7], v[88:89]
	v_fma_f64 v[50:51], v[86:87], s[6:7], v[58:59]
	v_fma_f64 v[56:57], v[144:145], s[4:5], v[70:71]
	v_fma_f64 v[58:59], v[144:145], s[6:7], v[70:71]
	v_fma_f64 v[70:71], v[162:163], s[4:5], v[82:83]
	v_fma_f64 v[78:79], v[162:163], s[6:7], v[82:83]
	v_fma_f64 v[82:83], v[24:25], s[4:5], v[88:89]
	v_add_f64 v[60:61], v[172:173], v[60:61]
	v_fma_f64 v[86:87], v[26:27], s[6:7], v[76:77]
	v_fma_f64 v[76:77], v[26:27], s[4:5], v[76:77]
	v_add_f64 v[4:5], v[142:143], v[4:5]
	v_fma_f64 v[88:89], v[16:17], s[6:7], v[84:85]
	v_fma_f64 v[16:17], v[16:17], s[4:5], v[84:85]
	;; [unrolled: 3-line block ×4, first 2 shown]
	v_fma_f64 v[104:105], v[10:11], s[6:7], v[96:97]
	v_fma_f64 v[96:97], v[10:11], s[4:5], v[96:97]
	v_fma_f64 v[106:107], v[0:1], s[6:7], v[98:99]
	v_fma_f64 v[98:99], v[0:1], s[4:5], v[98:99]
	ds_write2_b64 v230, v[2:3], v[28:29] offset1:24
	ds_write_b64 v230, v[30:31] offset:384
	ds_write2_b64 v124, v[20:21], v[32:33] offset1:24
	ds_write_b64 v124, v[34:35] offset:384
	;; [unrolled: 2-line block ×8, first 2 shown]
	v_and_b32_e32 v13, 0xffff, v117
	s_waitcnt lgkmcnt(0)
	s_barrier
	buffer_gl0_inv
	ds_read_b64 v[190:191], v129
	ds_read_b64 v[196:197], v122
	;; [unrolled: 1-line block ×9, first 2 shown]
	ds_read_b64 v[210:211], v129 offset:11592
	ds_read2_b64 v[0:3], v134 offset0:177 offset1:240
	ds_read2_b64 v[4:7], v141 offset0:55 offset1:118
	;; [unrolled: 1-line block ×7, first 2 shown]
	s_waitcnt lgkmcnt(0)
	s_barrier
	buffer_gl0_inv
	ds_write2_b64 v230, v[72:73], v[80:81] offset1:24
	ds_write_b64 v230, v[62:63] offset:384
	ds_write2_b64 v124, v[68:69], v[74:75] offset1:24
	ds_write_b64 v124, v[82:83] offset:384
	;; [unrolled: 2-line block ×8, first 2 shown]
	s_waitcnt lgkmcnt(0)
	s_barrier
	buffer_gl0_inv
	s_clause 0x1
	global_load_dwordx4 v[20:23], v[182:183], off offset:1120
	global_load_dwordx4 v[48:51], v229, s[8:9] offset:1136
	v_lshlrev_b32_sdwa v12, v123, v93 dst_sel:DWORD dst_unused:UNUSED_PAD src0_sel:DWORD src1_sel:BYTE_0
	v_lshlrev_b32_sdwa v14, v123, v115 dst_sel:DWORD dst_unused:UNUSED_PAD src0_sel:DWORD src1_sel:WORD_0
	v_sub_nc_u16 v15, v114, v228
	v_lshlrev_b32_e32 v16, 5, v13
	s_clause 0x4
	global_load_dwordx4 v[44:47], v[182:183], off offset:1136
	global_load_dwordx4 v[40:43], v229, s[8:9] offset:1120
	global_load_dwordx4 v[56:59], v14, s[8:9] offset:1120
	;; [unrolled: 1-line block ×4, first 2 shown]
	v_lshlrev_b32_sdwa v17, v123, v116 dst_sel:DWORD dst_unused:UNUSED_PAD src0_sel:DWORD src1_sel:WORD_0
	v_lshlrev_b32_sdwa v12, v123, v15 dst_sel:DWORD dst_unused:UNUSED_PAD src0_sel:DWORD src1_sel:WORD_0
	s_clause 0x8
	global_load_dwordx4 v[64:67], v[166:167], off offset:1136
	global_load_dwordx4 v[60:63], v16, s[8:9] offset:1120
	global_load_dwordx4 v[70:73], v16, s[8:9] offset:1136
	global_load_dwordx4 v[96:99], v[166:167], off offset:1120
	global_load_dwordx4 v[153:156], v14, s[8:9] offset:1136
	global_load_dwordx4 v[162:165], v17, s[8:9] offset:1120
	;; [unrolled: 1-line block ×5, first 2 shown]
	v_cndmask_b32_e64 v12, 0, 0x6c0, s0
	v_lshlrev_b32_e32 v14, 3, v157
	v_mov_b32_e32 v16, 0x6c0
	v_mul_u32_u24_e32 v17, 0x6c0, v160
	v_mul_u32_u24_e32 v18, 0x6c0, v161
	v_lshlrev_b32_sdwa v19, v152, v92 dst_sel:DWORD dst_unused:UNUSED_PAD src0_sel:DWORD src1_sel:BYTE_0
	v_add3_u32 v143, 0, v12, v14
	v_mul_u32_u24_sdwa v12, v125, v16 dst_sel:DWORD dst_unused:UNUSED_PAD src0_sel:WORD_0 src1_sel:DWORD
	v_mul_u32_u24_sdwa v14, v126, v16 dst_sel:DWORD dst_unused:UNUSED_PAD src0_sel:WORD_0 src1_sel:DWORD
	v_mul_u32_u24_e32 v16, 0x6c0, v159
	v_lshlrev_b32_sdwa v68, v152, v93 dst_sel:DWORD dst_unused:UNUSED_PAD src0_sel:DWORD src1_sel:BYTE_0
	v_lshlrev_b32_sdwa v69, v152, v115 dst_sel:DWORD dst_unused:UNUSED_PAD src0_sel:DWORD src1_sel:WORD_0
	v_lshlrev_b32_sdwa v74, v152, v116 dst_sel:DWORD dst_unused:UNUSED_PAD src0_sel:DWORD src1_sel:WORD_0
	v_lshlrev_b32_sdwa v15, v152, v15 dst_sel:DWORD dst_unused:UNUSED_PAD src0_sel:DWORD src1_sel:WORD_0
	ds_read2_b64 v[104:107], v141 offset0:55 offset1:118
	ds_read2_b64 v[108:111], v136 offset0:47 offset1:110
	v_add3_u32 v148, 0, v12, v19
	v_add3_u32 v145, 0, v14, v68
	v_lshl_add_u32 v144, v13, 3, 0
	v_add3_u32 v149, 0, v16, v69
	v_add3_u32 v146, 0, v17, v74
	v_add3_u32 v147, 0, v18, v15
	ds_read2_b64 v[114:117], v141 offset0:181 offset1:244
	ds_read2_b64 v[123:126], v136 offset0:173 offset1:236
	;; [unrolled: 1-line block ×5, first 2 shown]
	ds_read_b64 v[90:91], v129 offset:11592
	ds_read_b64 v[151:152], v119
	ds_read_b64 v[12:13], v118
	ds_read_b64 v[14:15], v131
	ds_read_b64 v[16:17], v130
	ds_read_b64 v[18:19], v129
	v_add_nc_u32_e32 v142, 0x800, v129
	v_add_nc_u32_e32 v150, 0x2800, v144
	v_cmp_gt_u32_e64 s0, 27, v192
	s_waitcnt vmcnt(15) lgkmcnt(12)
	v_mul_f64 v[68:69], v[104:105], v[22:23]
	v_mul_f64 v[22:23], v[4:5], v[22:23]
	s_waitcnt vmcnt(14) lgkmcnt(11)
	v_mul_f64 v[80:81], v[110:111], v[50:51]
	v_mul_f64 v[50:51], v[10:11], v[50:51]
	;; [unrolled: 3-line block ×3, first 2 shown]
	v_mul_f64 v[74:75], v[106:107], v[42:43]
	s_waitcnt vmcnt(5) lgkmcnt(4)
	v_mul_f64 v[212:213], v[151:152], v[98:99]
	v_mul_f64 v[82:83], v[114:115], v[54:55]
	;; [unrolled: 1-line block ×4, first 2 shown]
	s_waitcnt vmcnt(4)
	v_mul_f64 v[214:215], v[125:126], v[155:156]
	s_waitcnt vmcnt(3)
	v_mul_f64 v[216:217], v[157:158], v[164:165]
	;; [unrolled: 2-line block ×3, first 2 shown]
	v_mul_f64 v[118:119], v[186:187], v[62:63]
	v_mul_f64 v[166:167], v[90:91], v[72:73]
	;; [unrolled: 1-line block ×5, first 2 shown]
	s_waitcnt vmcnt(0)
	v_mul_f64 v[224:225], v[184:185], v[180:181]
	v_mul_f64 v[226:227], v[2:3], v[66:67]
	;; [unrolled: 1-line block ×3, first 2 shown]
	v_fma_f64 v[100:101], v[104:105], v[20:21], -v[22:23]
	v_mul_f64 v[46:47], v[8:9], v[46:47]
	v_fma_f64 v[78:79], v[4:5], v[20:21], v[68:69]
	v_mul_f64 v[42:43], v[6:7], v[42:43]
	v_fma_f64 v[104:105], v[2:3], v[64:65], v[102:103]
	v_fma_f64 v[92:93], v[8:9], v[44:45], v[76:77]
	;; [unrolled: 1-line block ×5, first 2 shown]
	v_mul_f64 v[54:55], v[24:25], v[54:55]
	v_mul_f64 v[88:89], v[28:29], v[88:89]
	v_fma_f64 v[74:75], v[24:25], v[52:53], v[82:83]
	v_fma_f64 v[66:67], v[26:27], v[56:57], v[84:85]
	;; [unrolled: 1-line block ×3, first 2 shown]
	v_mul_f64 v[58:59], v[26:27], v[58:59]
	v_mul_f64 v[155:156], v[30:31], v[155:156]
	v_fma_f64 v[82:83], v[30:31], v[153:154], v[214:215]
	v_mul_f64 v[164:165], v[32:33], v[164:165]
	v_mul_f64 v[176:177], v[36:37], v[176:177]
	v_fma_f64 v[76:77], v[32:33], v[162:163], v[216:217]
	v_fma_f64 v[94:95], v[36:37], v[174:175], v[220:221]
	v_mul_f64 v[172:173], v[34:35], v[172:173]
	v_mul_f64 v[180:181], v[38:39], v[180:181]
	v_fma_f64 v[20:21], v[0:1], v[60:61], v[118:119]
	v_fma_f64 v[68:69], v[34:35], v[170:171], v[218:219]
	v_fma_f64 v[102:103], v[186:187], v[60:61], -v[222:223]
	v_fma_f64 v[60:61], v[90:91], v[70:71], -v[72:73]
	v_fma_f64 v[90:91], v[38:39], v[178:179], v[224:225]
	v_fma_f64 v[22:23], v[210:211], v[70:71], v[166:167]
	v_fma_f64 v[64:65], v[188:189], v[64:65], -v[226:227]
	v_fma_f64 v[118:119], v[151:152], v[96:97], -v[98:99]
	v_add_f64 v[2:3], v[112:113], v[104:105]
	v_fma_f64 v[70:71], v[108:109], v[44:45], -v[46:47]
	v_add_f64 v[4:5], v[78:79], v[92:93]
	v_fma_f64 v[106:107], v[106:107], v[40:41], -v[42:43]
	v_fma_f64 v[72:73], v[110:111], v[48:49], -v[50:51]
	v_add_f64 v[6:7], v[62:63], v[80:81]
	v_fma_f64 v[108:109], v[114:115], v[52:53], -v[54:55]
	;; [unrolled: 3-line block ×5, first 2 shown]
	v_fma_f64 v[98:99], v[184:185], v[178:179], -v[180:181]
	v_add_f64 v[28:29], v[190:191], v[112:113]
	v_add_f64 v[30:31], v[68:69], v[90:91]
	;; [unrolled: 1-line block ×4, first 2 shown]
	v_add_f64 v[32:33], v[118:119], -v[64:65]
	v_fma_f64 v[2:3], v[2:3], -0.5, v[190:191]
	v_add_f64 v[34:35], v[208:209], v[78:79]
	v_add_f64 v[50:51], v[100:101], -v[70:71]
	v_fma_f64 v[4:5], v[4:5], -0.5, v[208:209]
	v_add_f64 v[36:37], v[206:207], v[62:63]
	;; [unrolled: 3-line block ×6, first 2 shown]
	v_add_f64 v[123:124], v[116:117], -v[98:99]
	v_fma_f64 v[30:31], v[30:31], -0.5, v[202:203]
	v_add_f64 v[24:25], v[102:103], -v[60:61]
	v_fma_f64 v[48:49], v[0:1], -0.5, v[204:205]
	v_add_f64 v[28:29], v[28:29], v[104:105]
	v_add_f64 v[170:171], v[46:47], v[22:23]
	v_fma_f64 v[46:47], v[32:33], s[4:5], v[2:3]
	v_fma_f64 v[32:33], v[32:33], s[6:7], v[2:3]
	v_add_f64 v[34:35], v[34:35], v[92:93]
	v_fma_f64 v[151:152], v[50:51], s[4:5], v[4:5]
	v_fma_f64 v[4:5], v[50:51], s[6:7], v[4:5]
	;; [unrolled: 3-line block ×7, first 2 shown]
	v_fma_f64 v[0:1], v[24:25], s[4:5], v[48:49]
	v_fma_f64 v[2:3], v[24:25], s[6:7], v[48:49]
	ds_read_b64 v[126:127], v122
	ds_read_b64 v[124:125], v120
	;; [unrolled: 1-line block ×4, first 2 shown]
	s_waitcnt lgkmcnt(0)
	s_barrier
	buffer_gl0_inv
	ds_write2_b64 v129, v[28:29], v[46:47] offset1:72
	ds_write_b64 v129, v[32:33] offset:1152
	ds_write2_b64 v143, v[34:35], v[151:152] offset1:72
	ds_write_b64 v143, v[4:5] offset:1152
	;; [unrolled: 2-line block ×7, first 2 shown]
	ds_write2_b64 v150, v[170:171], v[0:1] offset0:16 offset1:88
	ds_write_b64 v144, v[2:3] offset:11520
	s_waitcnt lgkmcnt(0)
	s_barrier
	buffer_gl0_inv
	ds_read2_b64 v[24:27], v129 offset1:216
	ds_read2_b64 v[28:31], v142 offset0:176 offset1:239
	ds_read_b64 v[176:177], v131
	ds_read_b64 v[174:175], v130
	ds_read_b64 v[178:179], v129 offset:11376
	ds_read2_b64 v[52:55], v141 offset0:46 offset1:136
	ds_read2_b64 v[32:35], v134 offset0:96 offset1:159
	;; [unrolled: 1-line block ×7, first 2 shown]
	v_sub_nc_u32_e32 v4, 0, v139
                                        ; implicit-def: $vgpr10_vgpr11
                                        ; implicit-def: $vgpr6_vgpr7
	v_add_nc_u32_e32 v138, v138, v4
	s_and_saveexec_b32 s1, s0
	s_cbranch_execz .LBB0_15
; %bb.14:
	v_add_nc_u32_e32 v0, 0xc00, v129
	v_add_nc_u32_e32 v4, 0x1a00, v129
	;; [unrolled: 1-line block ×3, first 2 shown]
	ds_read_b64 v[170:171], v138
	ds_read2_b64 v[0:3], v0 offset0:21 offset1:237
	ds_read2_b64 v[4:7], v4 offset0:5 offset1:221
	;; [unrolled: 1-line block ×3, first 2 shown]
.LBB0_15:
	s_or_b32 exec_lo, exec_lo, s1
	v_add_f64 v[139:140], v[118:119], v[64:65]
	v_add_f64 v[151:152], v[100:101], v[70:71]
	;; [unrolled: 1-line block ×6, first 2 shown]
	v_add_f64 v[104:105], v[112:113], -v[104:105]
	v_add_f64 v[112:113], v[116:117], v[98:99]
	v_add_f64 v[161:162], v[102:103], v[60:61]
	;; [unrolled: 1-line block ×5, first 2 shown]
	v_add_f64 v[78:79], v[78:79], -v[92:93]
	v_add_f64 v[92:93], v[14:15], v[106:107]
	v_add_f64 v[106:107], v[126:127], v[108:109]
	;; [unrolled: 1-line block ×4, first 2 shown]
	v_add_f64 v[62:63], v[62:63], -v[80:81]
	v_add_f64 v[114:115], v[120:121], v[116:117]
	v_add_f64 v[74:75], v[74:75], -v[84:85]
	v_add_f64 v[66:67], v[66:67], -v[82:83]
	;; [unrolled: 1-line block ×3, first 2 shown]
	v_fma_f64 v[18:19], v[139:140], -0.5, v[18:19]
	v_fma_f64 v[16:17], v[151:152], -0.5, v[16:17]
	;; [unrolled: 1-line block ×6, first 2 shown]
	v_add_f64 v[68:69], v[68:69], -v[90:91]
	v_add_f64 v[20:21], v[20:21], -v[22:23]
	v_fma_f64 v[22:23], v[112:113], -0.5, v[120:121]
	v_fma_f64 v[90:91], v[161:162], -0.5, v[12:13]
	v_add_f64 v[64:65], v[118:119], v[64:65]
	v_add_f64 v[172:173], v[102:103], v[60:61]
	;; [unrolled: 1-line block ×7, first 2 shown]
	s_waitcnt lgkmcnt(0)
	v_add_f64 v[94:95], v[114:115], v[98:99]
	s_barrier
	buffer_gl0_inv
	v_fma_f64 v[60:61], v[104:105], s[6:7], v[18:19]
	v_fma_f64 v[18:19], v[104:105], s[4:5], v[18:19]
	;; [unrolled: 1-line block ×16, first 2 shown]
	ds_write2_b64 v129, v[64:65], v[60:61] offset1:72
	ds_write_b64 v129, v[18:19] offset:1152
	ds_write2_b64 v143, v[70:71], v[96:97] offset1:72
	ds_write_b64 v143, v[16:17] offset:1152
	;; [unrolled: 2-line block ×7, first 2 shown]
	ds_write2_b64 v150, v[172:173], v[12:13] offset0:16 offset1:88
	ds_write_b64 v144, v[14:15] offset:11520
	s_waitcnt lgkmcnt(0)
	s_barrier
	buffer_gl0_inv
	ds_read2_b64 v[60:63], v129 offset1:216
	ds_read2_b64 v[64:67], v142 offset0:176 offset1:239
	ds_read2_b64 v[88:91], v141 offset0:46 offset1:136
	;; [unrolled: 1-line block ×8, first 2 shown]
	ds_read_b64 v[182:183], v131
	ds_read_b64 v[180:181], v130
	ds_read_b64 v[184:185], v129 offset:11376
                                        ; implicit-def: $vgpr22_vgpr23
                                        ; implicit-def: $vgpr18_vgpr19
	s_and_saveexec_b32 s1, s0
	s_cbranch_execz .LBB0_17
; %bb.16:
	v_add_nc_u32_e32 v12, 0xc00, v129
	v_add_nc_u32_e32 v16, 0x1a00, v129
	;; [unrolled: 1-line block ×3, first 2 shown]
	ds_read_b64 v[172:173], v138
	ds_read2_b64 v[12:15], v12 offset0:21 offset1:237
	ds_read2_b64 v[16:19], v16 offset0:5 offset1:221
	;; [unrolled: 1-line block ×3, first 2 shown]
.LBB0_17:
	s_or_b32 exec_lo, exec_lo, s1
	s_and_saveexec_b32 s1, vcc_lo
	s_cbranch_execz .LBB0_20
; %bb.18:
	v_mul_i32_i24_e32 v186, 6, v128
	v_mov_b32_e32 v187, 0
	v_mul_u32_u24_e32 v98, 6, v192
	v_add_nc_u32_e32 v198, 0x288, v192
	v_add_nc_u32_e32 v225, 0x510, v192
	;; [unrolled: 1-line block ×3, first 2 shown]
	v_lshlrev_b64 v[96:97], 4, v[186:187]
	v_lshlrev_b32_e32 v98, 4, v98
	v_mul_i32_i24_e32 v186, 6, v132
	v_add_nc_u32_e32 v197, 0x1b0, v192
	v_add_nc_u32_e32 v199, 0x360, v192
	v_mad_u64_u32 v[190:191], null, s2, v195, 0
	v_add_co_u32 v116, vcc_lo, s8, v96
	v_add_co_ci_u32_e32 v117, vcc_lo, s9, v97, vcc_lo
	v_add_co_u32 v100, s1, s8, v98
	v_add_co_ci_u32_e64 v101, null, s9, 0, s1
	v_add_co_u32 v140, vcc_lo, 0xd60, v116
	v_add_co_ci_u32_e32 v141, vcc_lo, 0, v117, vcc_lo
	v_add_co_u32 v112, vcc_lo, 0xd60, v100
	v_add_co_ci_u32_e32 v113, vcc_lo, 0, v101, vcc_lo
	;; [unrolled: 2-line block ×4, first 2 shown]
	global_load_dwordx4 v[96:99], v[140:141], off offset:16
	v_add_co_u32 v120, vcc_lo, 0xda0, v116
	s_clause 0x3
	global_load_dwordx4 v[100:103], v[114:115], off offset:1440
	global_load_dwordx4 v[104:107], v[104:105], off offset:16
	;; [unrolled: 1-line block ×4, first 2 shown]
	v_lshlrev_b64 v[122:123], 4, v[186:187]
	v_add_co_ci_u32_e32 v121, vcc_lo, 0, v117, vcc_lo
	v_add_co_u32 v136, vcc_lo, 0x800, v116
	v_add_co_ci_u32_e32 v137, vcc_lo, 0, v117, vcc_lo
	v_add_co_u32 v142, vcc_lo, s8, v122
	v_add_co_ci_u32_e32 v143, vcc_lo, s9, v123, vcc_lo
	s_clause 0x3
	global_load_dwordx4 v[132:135], v[114:115], off offset:1376
	global_load_dwordx4 v[124:127], v[112:113], off offset:48
	;; [unrolled: 1-line block ×4, first 2 shown]
	v_add_co_u32 v164, vcc_lo, 0x800, v142
	v_add_co_ci_u32_e32 v165, vcc_lo, 0, v143, vcc_lo
	v_add_co_u32 v144, vcc_lo, 0xda0, v142
	v_add_co_ci_u32_e32 v145, vcc_lo, 0, v143, vcc_lo
	;; [unrolled: 2-line block ×3, first 2 shown]
	s_clause 0x8
	global_load_dwordx4 v[120:123], v[120:121], off offset:16
	global_load_dwordx4 v[136:139], v[136:137], off offset:1440
	;; [unrolled: 1-line block ×9, first 2 shown]
	v_mad_u64_u32 v[188:189], null, s2, v192, 0
	v_add_nc_u32_e32 v200, 0x438, v192
	v_mad_u64_u32 v[205:206], null, s2, v198, 0
	v_mad_u64_u32 v[211:212], null, s2, v225, 0
	v_add_nc_u32_e32 v226, 0x117, v192
	v_mad_u64_u32 v[201:202], null, s2, v196, 0
	v_mad_u64_u32 v[203:204], null, s2, v197, 0
	v_add_nc_u32_e32 v227, 0x1ef, v192
	v_add_nc_u32_e32 v228, 0x2c7, v192
	v_mad_u64_u32 v[207:208], null, s2, v199, 0
	v_mad_u64_u32 v[209:210], null, s2, v200, 0
	;; [unrolled: 1-line block ×6, first 2 shown]
	v_mov_b32_e32 v191, v206
	v_mad_u64_u32 v[222:223], null, s3, v192, v[189:190]
	v_mov_b32_e32 v206, v212
	v_mad_u64_u32 v[223:224], null, s3, v196, v[202:203]
	v_mad_u64_u32 v[196:197], null, s3, v197, v[204:205]
	v_mov_b32_e32 v195, v208
	v_mov_b32_e32 v189, v210
	v_mad_u64_u32 v[197:198], null, s3, v198, v[191:192]
	v_mad_u64_u32 v[224:225], null, s3, v225, v[206:207]
	v_mov_b32_e32 v208, v214
	v_mov_b32_e32 v210, v216
	;; [unrolled: 1-line block ×3, first 2 shown]
	v_mad_u64_u32 v[198:199], null, s3, v199, v[195:196]
	v_mad_u64_u32 v[199:200], null, s3, v200, v[189:190]
	;; [unrolled: 1-line block ×5, first 2 shown]
	v_mov_b32_e32 v206, v197
	v_mov_b32_e32 v212, v224
	;; [unrolled: 1-line block ×5, first 2 shown]
	v_lshlrev_b64 v[199:200], 4, v[205:206]
	v_lshlrev_b64 v[205:206], 4, v[211:212]
	v_mov_b32_e32 v208, v198
	v_mov_b32_e32 v214, v225
	;; [unrolled: 1-line block ×5, first 2 shown]
	v_lshlrev_b64 v[195:196], 4, v[201:202]
	v_lshlrev_b64 v[197:198], 4, v[203:204]
	;; [unrolled: 1-line block ×6, first 2 shown]
	v_mov_b32_e32 v218, v227
	s_mov_b32 s24, 0xe976ee23
	s_mov_b32 s25, 0x3fe11646
	;; [unrolled: 1-line block ×16, first 2 shown]
	v_lshlrev_b64 v[188:189], 4, v[188:189]
	v_add_co_u32 v168, vcc_lo, s12, v168
	s_mov_b32 s6, 0xaaaaaaaa
	v_add_co_ci_u32_e32 v169, vcc_lo, s13, v169, vcc_lo
	s_mov_b32 s7, 0xbff2aaaa
	v_add_co_u32 v188, vcc_lo, v168, v188
	v_add_co_ci_u32_e32 v189, vcc_lo, v169, v189, vcc_lo
	s_mov_b32 s4, 0x37c3f68c
	s_mov_b32 s5, 0xbfdc38aa
	v_lshlrev_b64 v[190:191], 4, v[190:191]
	v_add_nc_u32_e32 v186, 0x39f, v192
	v_add_nc_u32_e32 v251, 0x477, v192
	v_add_co_u32 v190, vcc_lo, v168, v190
	v_add_co_ci_u32_e32 v191, vcc_lo, v169, v191, vcc_lo
	v_add_co_u32 v195, vcc_lo, v168, v195
	v_add_co_ci_u32_e32 v196, vcc_lo, v169, v196, vcc_lo
	;; [unrolled: 2-line block ×6, first 2 shown]
	v_add_co_u32 v205, vcc_lo, v168, v205
	v_mad_u64_u32 v[219:220], null, s2, v186, 0
	v_add_co_ci_u32_e32 v206, vcc_lo, v169, v206, vcc_lo
	v_add_co_u32 v207, vcc_lo, v168, v207
	v_add_co_ci_u32_e32 v208, vcc_lo, v169, v208, vcc_lo
	v_add_co_u32 v209, vcc_lo, v168, v209
	v_add_co_ci_u32_e32 v210, vcc_lo, v169, v210, vcc_lo
	s_waitcnt vmcnt(17) lgkmcnt(9)
	v_mul_f64 v[227:228], v[88:89], v[98:99]
	s_waitcnt vmcnt(16) lgkmcnt(7)
	v_mul_f64 v[213:214], v[94:95], v[102:103]
	s_waitcnt vmcnt(14)
	v_mul_f64 v[211:212], v[90:91], v[130:131]
	v_mul_f64 v[130:131], v[54:55], v[130:131]
	;; [unrolled: 1-line block ×3, first 2 shown]
	s_waitcnt lgkmcnt(6)
	v_mul_f64 v[215:216], v[76:77], v[106:107]
	v_mul_f64 v[106:107], v[44:45], v[106:107]
	s_waitcnt vmcnt(13)
	v_mul_f64 v[223:224], v[64:65], v[110:111]
	v_mul_f64 v[110:111], v[28:29], v[110:111]
	;; [unrolled: 1-line block ×3, first 2 shown]
	s_waitcnt vmcnt(12)
	v_mul_f64 v[221:222], v[62:63], v[134:135]
	v_mul_f64 v[134:135], v[26:27], v[134:135]
	s_waitcnt vmcnt(11)
	v_mul_f64 v[225:226], v[68:69], v[126:127]
	v_mul_f64 v[126:127], v[32:33], v[126:127]
	;; [unrolled: 3-line block ×3, first 2 shown]
	s_waitcnt vmcnt(9) lgkmcnt(5)
	v_mul_f64 v[233:234], v[82:83], v[114:115]
	v_mul_f64 v[114:115], v[50:51], v[114:115]
	v_fma_f64 v[52:53], v[52:53], v[96:97], v[227:228]
	s_waitcnt vmcnt(6) lgkmcnt(4)
	v_mul_f64 v[237:238], v[74:75], v[158:159]
	v_mul_f64 v[158:159], v[42:43], v[158:159]
	s_waitcnt vmcnt(5)
	v_mul_f64 v[239:240], v[80:81], v[142:143]
	s_waitcnt vmcnt(4)
	v_mul_f64 v[241:242], v[78:79], v[150:151]
	s_waitcnt lgkmcnt(0)
	v_mul_f64 v[231:232], v[184:185], v[122:123]
	v_mul_f64 v[122:123], v[178:179], v[122:123]
	;; [unrolled: 1-line block ×4, first 2 shown]
	s_waitcnt vmcnt(3)
	v_mul_f64 v[243:244], v[70:71], v[146:147]
	s_waitcnt vmcnt(2)
	v_mul_f64 v[245:246], v[72:73], v[154:155]
	;; [unrolled: 2-line block ×4, first 2 shown]
	v_mul_f64 v[150:151], v[46:47], v[150:151]
	v_mul_f64 v[142:143], v[48:49], v[142:143]
	v_fma_f64 v[54:55], v[54:55], v[128:129], v[211:212]
	v_fma_f64 v[90:91], v[90:91], v[128:129], -v[130:131]
	v_mul_f64 v[128:129], v[36:37], v[166:167]
	v_mul_f64 v[130:131], v[30:31], v[162:163]
	v_fma_f64 v[58:59], v[58:59], v[100:101], v[213:214]
	v_fma_f64 v[94:95], v[94:95], v[100:101], -v[102:103]
	;; [unrolled: 4-line block ×3, first 2 shown]
	v_fma_f64 v[26:27], v[26:27], v[132:133], v[221:222]
	v_fma_f64 v[62:63], v[62:63], v[132:133], -v[134:135]
	v_fma_f64 v[28:29], v[28:29], v[108:109], v[223:224]
	v_fma_f64 v[64:65], v[64:65], v[108:109], -v[110:111]
	;; [unrolled: 2-line block ×3, first 2 shown]
	v_fma_f64 v[88:89], v[88:89], v[96:97], -v[98:99]
	v_fma_f64 v[56:57], v[56:57], v[116:117], v[229:230]
	v_fma_f64 v[92:93], v[92:93], v[116:117], -v[118:119]
	v_fma_f64 v[96:97], v[178:179], v[120:121], v[231:232]
	;; [unrolled: 2-line block ×6, first 2 shown]
	v_fma_f64 v[46:47], v[46:47], v[148:149], v[241:242]
	v_fma_f64 v[34:35], v[34:35], v[144:145], v[243:244]
	;; [unrolled: 1-line block ×5, first 2 shown]
	v_fma_f64 v[78:79], v[78:79], v[148:149], -v[150:151]
	v_fma_f64 v[80:81], v[80:81], v[140:141], -v[142:143]
	;; [unrolled: 1-line block ×6, first 2 shown]
	v_add_f64 v[100:101], v[26:27], -v[44:45]
	v_add_f64 v[102:103], v[32:33], -v[54:55]
	v_add_f64 v[104:105], v[28:29], -v[58:59]
	v_add_f64 v[106:107], v[62:63], v[76:77]
	v_add_f64 v[108:109], v[64:65], v[94:95]
	v_add_f64 v[26:27], v[26:27], v[44:45]
	v_add_f64 v[28:29], v[28:29], v[58:59]
	v_add_f64 v[110:111], v[68:69], v[90:91]
	v_add_f64 v[32:33], v[32:33], v[54:55]
	v_add_f64 v[44:45], v[62:63], -v[76:77]
	v_add_f64 v[54:55], v[68:69], -v[90:91]
	v_add_f64 v[58:59], v[64:65], -v[94:95]
	v_add_f64 v[62:63], v[50:51], -v[96:97]
	v_add_f64 v[64:65], v[56:57], -v[42:43]
	v_add_f64 v[68:69], v[52:53], -v[38:39]
	v_add_f64 v[76:77], v[82:83], v[98:99]
	v_add_f64 v[90:91], v[88:89], v[86:87]
	v_add_f64 v[94:95], v[92:93], v[74:75]
	v_add_f64 v[50:51], v[50:51], v[96:97]
	v_add_f64 v[38:39], v[52:53], v[38:39]
	v_add_f64 v[42:43], v[56:57], v[42:43]
	v_add_f64 v[52:53], v[82:83], -v[98:99]
	v_add_f64 v[56:57], v[92:93], -v[74:75]
	v_add_f64 v[74:75], v[88:89], -v[86:87]
	v_add_f64 v[82:83], v[48:49], -v[46:47]
	v_add_f64 v[86:87], v[34:35], -v[40:41]
	v_add_f64 v[88:89], v[30:31], -v[36:37]
	v_add_f64 v[92:93], v[80:81], v[78:79]
	v_add_f64 v[96:97], v[66:67], v[84:85]
	v_add_f64 v[46:47], v[48:49], v[46:47]
	v_add_f64 v[30:31], v[30:31], v[36:37]
	v_add_f64 v[98:99], v[70:71], v[72:73]
	v_add_f64 v[34:35], v[34:35], v[40:41]
	v_add_f64 v[36:37], v[80:81], -v[78:79]
	v_add_f64 v[40:41], v[70:71], -v[72:73]
	v_add_f64 v[48:49], v[66:67], -v[84:85]
	v_add_f64 v[66:67], v[100:101], -v[102:103]
	v_add_f64 v[70:71], v[102:103], -v[104:105]
	v_add_f64 v[72:73], v[102:103], v[104:105]
	v_add_f64 v[78:79], v[106:107], v[108:109]
	;; [unrolled: 1-line block ×3, first 2 shown]
	v_add_f64 v[80:81], v[106:107], -v[110:111]
	v_add_f64 v[84:85], v[110:111], -v[108:109]
	;; [unrolled: 1-line block ×6, first 2 shown]
	v_add_f64 v[54:55], v[54:55], v[58:59]
	v_add_f64 v[104:105], v[104:105], -v[100:101]
	v_add_f64 v[106:107], v[108:109], -v[106:107]
	;; [unrolled: 1-line block ×5, first 2 shown]
	v_add_f64 v[64:65], v[64:65], v[68:69]
	v_add_f64 v[120:121], v[76:77], v[90:91]
	v_add_f64 v[122:123], v[76:77], -v[94:95]
	v_add_f64 v[124:125], v[94:95], -v[90:91]
	v_add_f64 v[126:127], v[50:51], v[38:39]
	v_add_f64 v[128:129], v[50:51], -v[42:43]
	v_add_f64 v[130:131], v[42:43], -v[38:39]
	;; [unrolled: 1-line block ×4, first 2 shown]
	v_add_f64 v[56:57], v[56:57], v[74:75]
	v_add_f64 v[68:69], v[68:69], -v[62:63]
	v_add_f64 v[76:77], v[90:91], -v[76:77]
	v_add_f64 v[38:39], v[38:39], -v[50:51]
	v_add_f64 v[50:51], v[74:75], -v[52:53]
	v_add_f64 v[74:75], v[82:83], -v[86:87]
	v_add_f64 v[90:91], v[86:87], -v[88:89]
	v_add_f64 v[86:87], v[86:87], v[88:89]
	v_add_f64 v[136:137], v[92:93], v[96:97]
	;; [unrolled: 1-line block ×3, first 2 shown]
	v_add_f64 v[58:59], v[58:59], -v[44:45]
	v_add_f64 v[138:139], v[92:93], -v[98:99]
	;; [unrolled: 1-line block ×7, first 2 shown]
	v_mul_f64 v[30:31], v[70:71], s[24:25]
	v_add_f64 v[70:71], v[100:101], v[72:73]
	v_add_f64 v[72:73], v[110:111], v[78:79]
	;; [unrolled: 1-line block ×3, first 2 shown]
	v_add_f64 v[150:151], v[40:41], -v[48:49]
	v_add_f64 v[88:89], v[88:89], -v[82:83]
	v_mul_f64 v[78:79], v[80:81], s[26:27]
	v_mul_f64 v[84:85], v[84:85], s[20:21]
	;; [unrolled: 1-line block ×5, first 2 shown]
	v_add_f64 v[44:45], v[44:45], v[54:55]
	v_mul_f64 v[54:55], v[104:105], s[16:17]
	v_add_f64 v[62:63], v[62:63], v[64:65]
	v_add_f64 v[64:65], v[94:95], v[120:121]
	v_mul_f64 v[118:119], v[124:125], s[20:21]
	v_add_f64 v[42:43], v[42:43], v[126:127]
	v_mul_f64 v[126:127], v[134:135], s[24:25]
	;; [unrolled: 2-line block ×3, first 2 shown]
	v_add_f64 v[82:83], v[82:83], v[86:87]
	v_add_f64 v[86:87], v[98:99], v[136:137]
	;; [unrolled: 1-line block ×3, first 2 shown]
	v_add_f64 v[148:149], v[36:37], -v[40:41]
	v_add_f64 v[40:41], v[40:41], v[48:49]
	v_mul_f64 v[110:111], v[58:59], s[16:17]
	v_mul_f64 v[114:115], v[26:27], s[24:25]
	;; [unrolled: 1-line block ×6, first 2 shown]
	v_add_f64 v[26:27], v[60:61], v[72:73]
	v_add_f64 v[24:25], v[24:25], v[96:97]
	v_add_f64 v[48:49], v[48:49], -v[36:37]
	v_mul_f64 v[94:95], v[122:123], s[26:27]
	v_mul_f64 v[134:135], v[140:141], s[20:21]
	;; [unrolled: 1-line block ×4, first 2 shown]
	v_fma_f64 v[152:153], v[66:67], s[10:11], v[30:31]
	v_fma_f64 v[60:61], v[80:81], s[26:27], v[84:85]
	;; [unrolled: 1-line block ×3, first 2 shown]
	v_fma_f64 v[54:55], v[66:67], s[22:23], -v[54:55]
	v_fma_f64 v[66:67], v[106:107], s[18:19], -v[78:79]
	;; [unrolled: 1-line block ×6, first 2 shown]
	v_add_f64 v[30:31], v[182:183], v[64:65]
	v_fma_f64 v[106:107], v[122:123], s[26:27], v[118:119]
	v_add_f64 v[28:29], v[176:177], v[42:43]
	v_fma_f64 v[122:123], v[132:133], s[10:11], v[126:127]
	v_fma_f64 v[56:57], v[108:109], s[22:23], -v[56:57]
	v_add_f64 v[34:35], v[180:181], v[86:87]
	v_add_f64 v[32:33], v[174:175], v[136:137]
	;; [unrolled: 1-line block ×3, first 2 shown]
	v_mul_f64 v[40:41], v[88:89], s[16:17]
	v_fma_f64 v[112:113], v[116:117], s[10:11], v[102:103]
	v_fma_f64 v[110:111], v[116:117], s[22:23], -v[110:111]
	v_fma_f64 v[58:59], v[58:59], s[16:17], -v[102:103]
	v_fma_f64 v[102:103], v[108:109], s[10:11], v[114:115]
	v_fma_f64 v[108:109], v[38:39], s[18:19], -v[120:121]
	v_fma_f64 v[120:121], v[132:133], s[22:23], -v[130:131]
	;; [unrolled: 1-line block ×4, first 2 shown]
	v_fma_f64 v[114:115], v[74:75], s[10:11], v[90:91]
	v_fma_f64 v[88:89], v[88:89], s[16:17], -v[90:91]
	v_fma_f64 v[72:73], v[72:73], s[6:7], v[26:27]
	v_fma_f64 v[90:91], v[96:97], s[6:7], v[24:25]
	v_mul_f64 v[98:99], v[138:139], s[26:27]
	v_mul_f64 v[140:141], v[144:145], s[26:27]
	;; [unrolled: 1-line block ×3, first 2 shown]
	v_fma_f64 v[116:117], v[128:129], s[26:27], v[124:125]
	v_fma_f64 v[94:95], v[76:77], s[18:19], -v[94:95]
	v_fma_f64 v[76:77], v[76:77], s[14:15], -v[118:119]
	;; [unrolled: 1-line block ×3, first 2 shown]
	v_fma_f64 v[118:119], v[138:139], s[26:27], v[134:135]
	v_fma_f64 v[124:125], v[144:145], s[26:27], v[142:143]
	;; [unrolled: 1-line block ×6, first 2 shown]
	global_store_dwordx4 v[188:189], v[24:27], off
	v_fma_f64 v[24:25], v[64:65], s[6:7], v[30:31]
	v_fma_f64 v[26:27], v[42:43], s[6:7], v[28:29]
	;; [unrolled: 1-line block ×6, first 2 shown]
	v_fma_f64 v[40:41], v[74:75], s[22:23], -v[40:41]
	v_fma_f64 v[112:113], v[44:45], s[4:5], v[112:113]
	v_fma_f64 v[110:111], v[44:45], s[4:5], v[110:111]
	v_fma_f64 v[44:45], v[44:45], s[4:5], v[58:59]
	v_fma_f64 v[120:121], v[52:53], s[4:5], v[120:121]
	v_fma_f64 v[86:87], v[52:53], s[4:5], v[50:51]
	v_add_f64 v[52:53], v[60:61], v[72:73]
	v_add_f64 v[58:59], v[80:81], v[90:91]
	;; [unrolled: 1-line block ×3, first 2 shown]
	v_fma_f64 v[48:49], v[48:49], s[16:17], -v[146:147]
	v_add_f64 v[60:61], v[78:79], v[90:91]
	v_fma_f64 v[74:75], v[92:93], s[18:19], -v[98:99]
	v_fma_f64 v[98:99], v[46:47], s[18:19], -v[140:141]
	;; [unrolled: 1-line block ×3, first 2 shown]
	v_fma_f64 v[102:103], v[62:63], s[4:5], v[102:103]
	v_fma_f64 v[68:69], v[62:63], s[4:5], v[68:69]
	v_add_f64 v[62:63], v[84:85], v[72:73]
	v_add_f64 v[64:65], v[100:101], v[90:91]
	v_fma_f64 v[92:93], v[92:93], s[14:15], -v[134:135]
	v_fma_f64 v[128:129], v[148:149], s[22:23], -v[150:151]
	v_fma_f64 v[114:115], v[82:83], s[4:5], v[114:115]
	v_fma_f64 v[126:127], v[36:37], s[4:5], v[126:127]
	;; [unrolled: 1-line block ×3, first 2 shown]
	v_add_f64 v[72:73], v[76:77], v[24:25]
	v_add_f64 v[88:89], v[118:119], v[42:43]
	;; [unrolled: 1-line block ×3, first 2 shown]
	v_fma_f64 v[100:101], v[82:83], s[4:5], v[40:41]
	v_add_f64 v[84:85], v[116:117], v[26:27]
	v_add_f64 v[82:83], v[108:109], v[26:27]
	;; [unrolled: 1-line block ×5, first 2 shown]
	v_add_f64 v[50:51], v[50:51], -v[54:55]
	v_add_f64 v[54:55], v[52:53], -v[96:97]
	v_add_f64 v[52:53], v[112:113], v[58:59]
	v_fma_f64 v[132:133], v[36:37], s[4:5], v[48:49]
	v_add_f64 v[48:49], v[110:111], v[60:61]
	v_add_f64 v[116:117], v[46:47], v[56:57]
	;; [unrolled: 1-line block ×4, first 2 shown]
	v_add_f64 v[44:45], v[64:65], -v[44:45]
	v_add_f64 v[80:81], v[106:107], v[24:25]
	v_add_f64 v[106:107], v[74:75], v[42:43]
	;; [unrolled: 1-line block ×4, first 2 shown]
	v_add_f64 v[42:43], v[62:63], -v[70:71]
	v_fma_f64 v[128:129], v[36:37], s[4:5], v[128:129]
	v_add_f64 v[36:37], v[60:61], -v[110:111]
	v_add_f64 v[78:79], v[94:95], v[24:25]
	v_add_f64 v[24:25], v[58:59], -v[112:113]
	v_add_f64 v[66:67], v[72:73], -v[68:69]
	v_add_f64 v[70:71], v[68:69], v[72:73]
	v_add_f64 v[74:75], v[88:89], -v[114:115]
	v_add_f64 v[72:73], v[126:127], v[90:91]
	global_store_dwordx4 v[195:196], v[52:55], off
	global_store_dwordx4 v[197:198], v[48:51], off
	;; [unrolled: 1-line block ×8, first 2 shown]
	v_lshrrev_b32_e32 v34, 3, v194
	v_add_f64 v[58:59], v[102:103], v[80:81]
	v_add_f64 v[56:57], v[84:85], -v[104:105]
	v_add_f64 v[60:61], v[82:83], -v[120:121]
	v_add_f64 v[64:65], v[86:87], v[76:77]
	v_add_f64 v[68:69], v[76:77], -v[86:87]
	v_add_f64 v[76:77], v[120:121], v[82:83]
	;; [unrolled: 2-line block ×5, first 2 shown]
	v_mad_u64_u32 v[32:33], null, s2, v251, 0
	v_add_f64 v[94:95], v[98:99], -v[130:131]
	v_add_f64 v[98:99], v[130:131], v[98:99]
	v_add_f64 v[96:97], v[116:117], -v[132:133]
	v_mov_b32_e32 v26, v220
	v_mul_hi_u32 v36, 0x97b425f, v34
	v_add_nc_u32_e32 v38, 0x54f, v192
	v_lshlrev_b64 v[24:25], 4, v[217:218]
	v_add_f64 v[92:93], v[132:133], v[116:117]
	v_mad_u64_u32 v[26:27], null, s3, v186, v[26:27]
	v_mov_b32_e32 v27, v33
	v_mad_u64_u32 v[34:35], null, s2, v38, 0
	v_mad_u32_u24 v39, 0x510, v36, v194
	v_add_co_u32 v24, vcc_lo, v168, v24
	v_mad_u64_u32 v[36:37], null, s3, v251, v[27:28]
	v_mov_b32_e32 v220, v26
	v_mad_u64_u32 v[26:27], null, s2, v39, 0
	v_add_co_ci_u32_e32 v25, vcc_lo, v169, v25, vcc_lo
	v_add_f64 v[86:87], v[114:115], v[88:89]
	v_add_f64 v[88:89], v[108:109], -v[128:129]
	v_mov_b32_e32 v33, v36
	v_mad_u64_u32 v[35:36], null, s3, v38, v[35:36]
	global_store_dwordx4 v[209:210], v[100:103], off
	global_store_dwordx4 v[24:25], v[96:99], off
	v_lshlrev_b64 v[24:25], 4, v[219:220]
	v_mad_u64_u32 v[36:37], null, s3, v39, v[27:28]
	v_add_nc_u32_e32 v40, 0xd8, v39
	v_lshlrev_b64 v[32:33], 4, v[32:33]
	v_lshlrev_b64 v[34:35], 4, v[34:35]
	v_add_co_u32 v24, vcc_lo, v168, v24
	v_mad_u64_u32 v[37:38], null, s2, v40, 0
	v_add_co_ci_u32_e32 v25, vcc_lo, v169, v25, vcc_lo
	v_mov_b32_e32 v27, v36
	v_add_co_u32 v32, vcc_lo, v168, v32
	global_store_dwordx4 v[24:25], v[92:95], off
	v_add_co_ci_u32_e32 v33, vcc_lo, v169, v33, vcc_lo
	v_lshlrev_b64 v[25:26], 4, v[26:27]
	v_mov_b32_e32 v24, v38
	v_add_nc_u32_e32 v36, 0x360, v39
	global_store_dwordx4 v[32:33], v[88:91], off
	v_add_f64 v[62:63], v[122:123], v[78:79]
	v_add_f64 v[78:79], v[78:79], -v[122:123]
	v_mad_u64_u32 v[32:33], null, s3, v40, v[24:25]
	v_add_co_u32 v33, vcc_lo, v168, v34
	v_add_co_ci_u32_e32 v34, vcc_lo, v169, v35, vcc_lo
	v_add_co_u32 v24, vcc_lo, v168, v25
	v_add_nc_u32_e32 v35, 0x1b0, v39
	v_add_co_ci_u32_e32 v25, vcc_lo, v169, v26, vcc_lo
	global_store_dwordx4 v[33:34], v[84:87], off
	v_add_nc_u32_e32 v34, 0x288, v39
	v_mad_u64_u32 v[26:27], null, s2, v35, 0
	global_store_dwordx4 v[24:25], v[28:31], off
	v_mov_b32_e32 v38, v32
	v_mad_u64_u32 v[28:29], null, s2, v34, 0
	v_mad_u64_u32 v[30:31], null, s2, v36, 0
	v_lshlrev_b64 v[24:25], 4, v[37:38]
	v_add_nc_u32_e32 v40, 0x438, v39
	v_add_nc_u32_e32 v39, 0x510, v39
	v_mad_u64_u32 v[32:33], null, s3, v35, v[27:28]
	v_mov_b32_e32 v27, v31
	v_mad_u64_u32 v[33:34], null, s3, v34, v[29:30]
	v_add_co_u32 v24, vcc_lo, v168, v24
	v_mad_u64_u32 v[34:35], null, s2, v40, 0
	v_add_co_ci_u32_e32 v25, vcc_lo, v169, v25, vcc_lo
	v_mad_u64_u32 v[36:37], null, s3, v36, v[27:28]
	v_mov_b32_e32 v27, v32
	global_store_dwordx4 v[24:25], v[80:83], off
	v_mad_u64_u32 v[37:38], null, s2, v39, 0
	v_mov_b32_e32 v24, v35
	v_lshlrev_b64 v[25:26], 4, v[26:27]
	v_mov_b32_e32 v29, v33
	v_mov_b32_e32 v31, v36
	v_mad_u64_u32 v[32:33], null, s3, v40, v[24:25]
	v_mov_b32_e32 v24, v38
	v_add_co_u32 v25, vcc_lo, v168, v25
	v_lshlrev_b64 v[27:28], 4, v[28:29]
	v_lshlrev_b64 v[29:30], 4, v[30:31]
	v_add_co_ci_u32_e32 v26, vcc_lo, v169, v26, vcc_lo
	v_mad_u64_u32 v[38:39], null, s3, v39, v[24:25]
	v_mov_b32_e32 v35, v32
	v_add_co_u32 v27, vcc_lo, v168, v27
	v_add_co_ci_u32_e32 v28, vcc_lo, v169, v28, vcc_lo
	v_lshlrev_b64 v[31:32], 4, v[34:35]
	v_add_co_u32 v29, vcc_lo, v168, v29
	v_lshlrev_b64 v[33:34], 4, v[37:38]
	v_add_co_ci_u32_e32 v30, vcc_lo, v169, v30, vcc_lo
	v_add_co_u32 v31, vcc_lo, v168, v31
	v_add_co_ci_u32_e32 v32, vcc_lo, v169, v32, vcc_lo
	v_add_co_u32 v33, vcc_lo, v168, v33
	v_add_co_ci_u32_e32 v34, vcc_lo, v169, v34, vcc_lo
	global_store_dwordx4 v[25:26], v[76:79], off
	global_store_dwordx4 v[27:28], v[68:71], off
	;; [unrolled: 1-line block ×5, first 2 shown]
	s_and_b32 exec_lo, exec_lo, s0
	s_cbranch_execz .LBB0_20
; %bb.19:
	v_subrev_nc_u32_e32 v24, 27, v192
	v_add_nc_u32_e32 v66, 0x41d, v192
	v_add_nc_u32_e32 v61, 0x345, v192
	;; [unrolled: 1-line block ×4, first 2 shown]
	v_cndmask_b32_e64 v24, v24, v193, s0
	v_mul_i32_i24_e32 v186, 6, v24
	v_lshlrev_b64 v[24:25], 4, v[186:187]
	v_add_co_u32 v24, vcc_lo, s8, v24
	v_add_co_ci_u32_e32 v25, vcc_lo, s9, v25, vcc_lo
	v_add_co_u32 v44, vcc_lo, 0xd60, v24
	v_add_co_ci_u32_e32 v45, vcc_lo, 0, v25, vcc_lo
	;; [unrolled: 2-line block ×4, first 2 shown]
	s_clause 0x5
	global_load_dwordx4 v[24:27], v[36:37], off offset:1376
	global_load_dwordx4 v[28:31], v[44:45], off offset:16
	;; [unrolled: 1-line block ×6, first 2 shown]
	s_waitcnt vmcnt(5)
	v_mul_f64 v[48:49], v[12:13], v[26:27]
	v_mul_f64 v[26:27], v[0:1], v[26:27]
	s_waitcnt vmcnt(4)
	v_mul_f64 v[50:51], v[14:15], v[30:31]
	v_mul_f64 v[30:31], v[2:3], v[30:31]
	;; [unrolled: 3-line block ×6, first 2 shown]
	v_fma_f64 v[0:1], v[0:1], v[24:25], v[48:49]
	v_fma_f64 v[12:13], v[12:13], v[24:25], -v[26:27]
	v_fma_f64 v[2:3], v[2:3], v[28:29], v[50:51]
	v_fma_f64 v[14:15], v[14:15], v[28:29], -v[30:31]
	;; [unrolled: 2-line block ×6, first 2 shown]
	v_add_nc_u32_e32 v56, 0xbd, v192
	v_add_nc_u32_e32 v58, 0x195, v192
	;; [unrolled: 1-line block ×3, first 2 shown]
	v_mad_u64_u32 v[36:37], null, s2, v66, 0
	v_mad_u64_u32 v[32:33], null, s2, v56, 0
	;; [unrolled: 1-line block ×5, first 2 shown]
	v_add_f64 v[24:25], v[0:1], v[10:11]
	v_add_f64 v[26:27], v[12:13], v[22:23]
	;; [unrolled: 1-line block ×4, first 2 shown]
	v_add_f64 v[2:3], v[2:3], -v[8:9]
	v_add_f64 v[8:9], v[14:15], -v[20:21]
	v_add_f64 v[14:15], v[4:5], v[6:7]
	v_add_f64 v[20:21], v[16:17], v[18:19]
	v_add_f64 v[4:5], v[6:7], -v[4:5]
	v_add_f64 v[6:7], v[18:19], -v[16:17]
	;; [unrolled: 1-line block ×4, first 2 shown]
	v_mad_u64_u32 v[16:17], null, s2, v59, 0
	v_mad_u64_u32 v[22:23], null, s2, v61, 0
	;; [unrolled: 1-line block ×6, first 2 shown]
	v_add_f64 v[0:1], v[28:29], v[24:25]
	v_add_f64 v[18:19], v[30:31], v[26:27]
	v_mad_u64_u32 v[67:68], null, s3, v68, v[39:40]
	v_add_f64 v[42:43], v[24:25], -v[14:15]
	v_add_f64 v[44:45], v[26:27], -v[20:21]
	;; [unrolled: 1-line block ×6, first 2 shown]
	v_add_f64 v[8:9], v[6:7], v[8:9]
	v_add_f64 v[6:7], v[12:13], -v[6:7]
	v_add_f64 v[23:24], v[28:29], -v[24:25]
	;; [unrolled: 1-line block ×3, first 2 shown]
	v_mov_b32_e32 v33, v56
	v_mov_b32_e32 v35, v57
	v_mov_b32_e32 v37, v66
	v_mov_b32_e32 v39, v67
	v_add_f64 v[54:55], v[14:15], v[0:1]
	v_add_f64 v[18:19], v[20:21], v[18:19]
	v_add_f64 v[14:15], v[14:15], -v[28:29]
	v_add_f64 v[20:21], v[20:21], -v[30:31]
	v_mul_f64 v[42:43], v[42:43], s[26:27]
	v_mul_f64 v[44:45], v[44:45], s[26:27]
	;; [unrolled: 1-line block ×6, first 2 shown]
	v_add_f64 v[8:9], v[8:9], v[12:13]
	v_add_f64 v[0:1], v[170:171], v[54:55]
	v_mad_u64_u32 v[58:59], null, s3, v59, v[17:18]
	v_add_f64 v[59:60], v[4:5], v[2:3]
	v_add_f64 v[4:5], v[10:11], -v[4:5]
	v_add_f64 v[2:3], v[172:173], v[18:19]
	v_mul_f64 v[27:28], v[14:15], s[20:21]
	v_mul_f64 v[29:30], v[20:21], s[20:21]
	v_fma_f64 v[12:13], v[14:15], s[20:21], v[42:43]
	v_fma_f64 v[14:15], v[20:21], s[20:21], v[44:45]
	v_mad_u64_u32 v[68:69], null, s3, v69, v[41:42]
	v_fma_f64 v[42:43], v[23:24], s[18:19], -v[42:43]
	v_fma_f64 v[44:45], v[25:26], s[18:19], -v[44:45]
	v_mov_b32_e32 v17, v58
	v_mov_b32_e32 v41, v68
	v_lshlrev_b64 v[16:17], 4, v[16:17]
	v_add_f64 v[10:11], v[59:60], v[10:11]
	v_fma_f64 v[20:21], v[4:5], s[10:11], v[46:47]
	v_fma_f64 v[59:60], v[6:7], s[10:11], v[48:49]
	v_fma_f64 v[46:47], v[50:51], s[16:17], -v[46:47]
	v_fma_f64 v[50:51], v[54:55], s[6:7], v[0:1]
	v_fma_f64 v[18:19], v[18:19], s[6:7], v[2:3]
	v_fma_f64 v[48:49], v[52:53], s[16:17], -v[48:49]
	v_fma_f64 v[4:5], v[4:5], s[22:23], -v[62:63]
	;; [unrolled: 1-line block ×5, first 2 shown]
	v_lshlrev_b64 v[29:30], 4, v[32:33]
	v_lshlrev_b64 v[31:32], 4, v[34:35]
	v_mov_b32_e32 v23, v61
	v_lshlrev_b64 v[35:36], 4, v[36:37]
	v_lshlrev_b64 v[37:38], 4, v[38:39]
	;; [unrolled: 1-line block ×3, first 2 shown]
	v_fma_f64 v[33:34], v[10:11], s[4:5], v[20:21]
	v_fma_f64 v[52:53], v[8:9], s[4:5], v[59:60]
	;; [unrolled: 1-line block ×3, first 2 shown]
	v_add_f64 v[56:57], v[12:13], v[50:51]
	v_add_f64 v[58:59], v[14:15], v[18:19]
	v_fma_f64 v[46:47], v[8:9], s[4:5], v[48:49]
	v_fma_f64 v[48:49], v[10:11], s[4:5], v[4:5]
	;; [unrolled: 1-line block ×3, first 2 shown]
	v_add_f64 v[42:43], v[42:43], v[50:51]
	v_add_f64 v[44:45], v[44:45], v[18:19]
	;; [unrolled: 1-line block ×4, first 2 shown]
	v_add_co_u32 v28, vcc_lo, v168, v29
	v_add_co_ci_u32_e32 v29, vcc_lo, v169, v30, vcc_lo
	v_add_co_u32 v30, vcc_lo, v168, v31
	v_add_co_ci_u32_e32 v31, vcc_lo, v169, v32, vcc_lo
	;; [unrolled: 2-line block ×3, first 2 shown]
	v_lshlrev_b64 v[50:51], 4, v[22:23]
	v_add_f64 v[4:5], v[52:53], v[56:57]
	v_add_f64 v[6:7], v[58:59], -v[33:34]
	v_add_f64 v[24:25], v[56:57], -v[52:53]
	v_add_f64 v[8:9], v[54:55], v[42:43]
	v_add_f64 v[10:11], v[44:45], -v[48:49]
	v_add_f64 v[12:13], v[26:27], -v[46:47]
	v_add_f64 v[14:15], v[20:21], v[18:19]
	v_add_f64 v[16:17], v[46:47], v[26:27]
	v_add_f64 v[18:19], v[18:19], -v[20:21]
	v_add_f64 v[20:21], v[42:43], -v[54:55]
	v_add_f64 v[22:23], v[48:49], v[44:45]
	v_add_f64 v[26:27], v[33:34], v[58:59]
	v_add_co_u32 v32, vcc_lo, v168, v50
	v_add_co_ci_u32_e32 v33, vcc_lo, v169, v51, vcc_lo
	v_add_co_u32 v34, vcc_lo, v168, v35
	v_add_co_ci_u32_e32 v35, vcc_lo, v169, v36, vcc_lo
	v_add_co_u32 v36, vcc_lo, v168, v37
	v_add_co_ci_u32_e32 v37, vcc_lo, v169, v38, vcc_lo
	v_add_co_u32 v38, vcc_lo, v168, v39
	v_add_co_ci_u32_e32 v39, vcc_lo, v169, v40, vcc_lo
	global_store_dwordx4 v[28:29], v[0:3], off
	global_store_dwordx4 v[30:31], v[4:7], off
	;; [unrolled: 1-line block ×7, first 2 shown]
.LBB0_20:
	s_endpgm
	.section	.rodata,"a",@progbits
	.p2align	6, 0x0
	.amdhsa_kernel fft_rtc_back_len1512_factors_2_2_2_3_3_3_7_wgs_63_tpt_63_halfLds_dp_ip_CI_sbrr_dirReg
		.amdhsa_group_segment_fixed_size 0
		.amdhsa_private_segment_fixed_size 0
		.amdhsa_kernarg_size 88
		.amdhsa_user_sgpr_count 6
		.amdhsa_user_sgpr_private_segment_buffer 1
		.amdhsa_user_sgpr_dispatch_ptr 0
		.amdhsa_user_sgpr_queue_ptr 0
		.amdhsa_user_sgpr_kernarg_segment_ptr 1
		.amdhsa_user_sgpr_dispatch_id 0
		.amdhsa_user_sgpr_flat_scratch_init 0
		.amdhsa_user_sgpr_private_segment_size 0
		.amdhsa_wavefront_size32 1
		.amdhsa_uses_dynamic_stack 0
		.amdhsa_system_sgpr_private_segment_wavefront_offset 0
		.amdhsa_system_sgpr_workgroup_id_x 1
		.amdhsa_system_sgpr_workgroup_id_y 0
		.amdhsa_system_sgpr_workgroup_id_z 0
		.amdhsa_system_sgpr_workgroup_info 0
		.amdhsa_system_vgpr_workitem_id 0
		.amdhsa_next_free_vgpr 252
		.amdhsa_next_free_sgpr 28
		.amdhsa_reserve_vcc 1
		.amdhsa_reserve_flat_scratch 0
		.amdhsa_float_round_mode_32 0
		.amdhsa_float_round_mode_16_64 0
		.amdhsa_float_denorm_mode_32 3
		.amdhsa_float_denorm_mode_16_64 3
		.amdhsa_dx10_clamp 1
		.amdhsa_ieee_mode 1
		.amdhsa_fp16_overflow 0
		.amdhsa_workgroup_processor_mode 1
		.amdhsa_memory_ordered 1
		.amdhsa_forward_progress 0
		.amdhsa_shared_vgpr_count 0
		.amdhsa_exception_fp_ieee_invalid_op 0
		.amdhsa_exception_fp_denorm_src 0
		.amdhsa_exception_fp_ieee_div_zero 0
		.amdhsa_exception_fp_ieee_overflow 0
		.amdhsa_exception_fp_ieee_underflow 0
		.amdhsa_exception_fp_ieee_inexact 0
		.amdhsa_exception_int_div_zero 0
	.end_amdhsa_kernel
	.text
.Lfunc_end0:
	.size	fft_rtc_back_len1512_factors_2_2_2_3_3_3_7_wgs_63_tpt_63_halfLds_dp_ip_CI_sbrr_dirReg, .Lfunc_end0-fft_rtc_back_len1512_factors_2_2_2_3_3_3_7_wgs_63_tpt_63_halfLds_dp_ip_CI_sbrr_dirReg
                                        ; -- End function
	.section	.AMDGPU.csdata,"",@progbits
; Kernel info:
; codeLenInByte = 21056
; NumSgprs: 30
; NumVgprs: 252
; ScratchSize: 0
; MemoryBound: 1
; FloatMode: 240
; IeeeMode: 1
; LDSByteSize: 0 bytes/workgroup (compile time only)
; SGPRBlocks: 3
; VGPRBlocks: 31
; NumSGPRsForWavesPerEU: 30
; NumVGPRsForWavesPerEU: 252
; Occupancy: 4
; WaveLimiterHint : 1
; COMPUTE_PGM_RSRC2:SCRATCH_EN: 0
; COMPUTE_PGM_RSRC2:USER_SGPR: 6
; COMPUTE_PGM_RSRC2:TRAP_HANDLER: 0
; COMPUTE_PGM_RSRC2:TGID_X_EN: 1
; COMPUTE_PGM_RSRC2:TGID_Y_EN: 0
; COMPUTE_PGM_RSRC2:TGID_Z_EN: 0
; COMPUTE_PGM_RSRC2:TIDIG_COMP_CNT: 0
	.text
	.p2alignl 6, 3214868480
	.fill 48, 4, 3214868480
	.type	__hip_cuid_5fcece42b8b69308,@object ; @__hip_cuid_5fcece42b8b69308
	.section	.bss,"aw",@nobits
	.globl	__hip_cuid_5fcece42b8b69308
__hip_cuid_5fcece42b8b69308:
	.byte	0                               ; 0x0
	.size	__hip_cuid_5fcece42b8b69308, 1

	.ident	"AMD clang version 19.0.0git (https://github.com/RadeonOpenCompute/llvm-project roc-6.4.0 25133 c7fe45cf4b819c5991fe208aaa96edf142730f1d)"
	.section	".note.GNU-stack","",@progbits
	.addrsig
	.addrsig_sym __hip_cuid_5fcece42b8b69308
	.amdgpu_metadata
---
amdhsa.kernels:
  - .args:
      - .actual_access:  read_only
        .address_space:  global
        .offset:         0
        .size:           8
        .value_kind:     global_buffer
      - .offset:         8
        .size:           8
        .value_kind:     by_value
      - .actual_access:  read_only
        .address_space:  global
        .offset:         16
        .size:           8
        .value_kind:     global_buffer
      - .actual_access:  read_only
        .address_space:  global
        .offset:         24
        .size:           8
        .value_kind:     global_buffer
      - .offset:         32
        .size:           8
        .value_kind:     by_value
      - .actual_access:  read_only
        .address_space:  global
        .offset:         40
        .size:           8
        .value_kind:     global_buffer
      - .actual_access:  read_only
        .address_space:  global
        .offset:         48
        .size:           8
        .value_kind:     global_buffer
      - .offset:         56
        .size:           4
        .value_kind:     by_value
      - .actual_access:  read_only
        .address_space:  global
        .offset:         64
        .size:           8
        .value_kind:     global_buffer
      - .actual_access:  read_only
        .address_space:  global
        .offset:         72
        .size:           8
        .value_kind:     global_buffer
      - .address_space:  global
        .offset:         80
        .size:           8
        .value_kind:     global_buffer
    .group_segment_fixed_size: 0
    .kernarg_segment_align: 8
    .kernarg_segment_size: 88
    .language:       OpenCL C
    .language_version:
      - 2
      - 0
    .max_flat_workgroup_size: 63
    .name:           fft_rtc_back_len1512_factors_2_2_2_3_3_3_7_wgs_63_tpt_63_halfLds_dp_ip_CI_sbrr_dirReg
    .private_segment_fixed_size: 0
    .sgpr_count:     30
    .sgpr_spill_count: 0
    .symbol:         fft_rtc_back_len1512_factors_2_2_2_3_3_3_7_wgs_63_tpt_63_halfLds_dp_ip_CI_sbrr_dirReg.kd
    .uniform_work_group_size: 1
    .uses_dynamic_stack: false
    .vgpr_count:     252
    .vgpr_spill_count: 0
    .wavefront_size: 32
    .workgroup_processor_mode: 1
amdhsa.target:   amdgcn-amd-amdhsa--gfx1030
amdhsa.version:
  - 1
  - 2
...

	.end_amdgpu_metadata
